;; amdgpu-corpus repo=ROCm/Tensile kind=harvested arch=n/a opt=n/a

/******************************************/
/* Function Prefix                        */
/******************************************/



/******************************************/
/* Begin Kernel                           */
/******************************************/

// Component.Signature.SignatureDefault
.amdgcn_target "amdgcn-amd-amdhsa--gfx942"
.text
.protected Cijk_Alik_Bljk_DB_MT64x128x16_MI16x16x4x1_SN_1LDSB1_APM1_AF0EM1_AF1EM1_AMAS3_ASE_ASGT_ASLT_ASM_ASAE01_ASCE01_ASEM1_BL0_BS0_CLR0_DTVA0_DTVB0_ETSP_EPS0_ELFLR0_EMLL0_FSSC10_FL0_GLVWA2_GLVWB2_GRCGA1_GRPM1_GRVW2_GSU1_GSUASB_GLS0_IU1_K1_LBSPPA0_LBSPPB0_LPA2_LPB2_LRVW1_LWPMn1_MIAV1_MKFGSU256_NTA0_NTB0_NTC3_NTD3_NEPBS0_NLCA1_NLCB1_ONLL1_PGR2_PLR5_PKA0_SIA3_SLW1_SS1_SU0_SUM0_SUS0_SPO1_SRVW0_SSO8_SVW2_TSGRA0_TSGRB0_TT4_32_TLDS0_UMLDSA0_UMLDSB0_USFGROn1_VAW1_VSn1_VW2_VWB1_VFLRP0_WSGRA0_WSGRB0_WG16_16_1_WGM30
.globl Cijk_Alik_Bljk_DB_MT64x128x16_MI16x16x4x1_SN_1LDSB1_APM1_AF0EM1_AF1EM1_AMAS3_ASE_ASGT_ASLT_ASM_ASAE01_ASCE01_ASEM1_BL0_BS0_CLR0_DTVA0_DTVB0_ETSP_EPS0_ELFLR0_EMLL0_FSSC10_FL0_GLVWA2_GLVWB2_GRCGA1_GRPM1_GRVW2_GSU1_GSUASB_GLS0_IU1_K1_LBSPPA0_LBSPPB0_LPA2_LPB2_LRVW1_LWPMn1_MIAV1_MKFGSU256_NTA0_NTB0_NTC3_NTD3_NEPBS0_NLCA1_NLCB1_ONLL1_PGR2_PLR5_PKA0_SIA3_SLW1_SS1_SU0_SUM0_SUS0_SPO1_SRVW0_SSO8_SVW2_TSGRA0_TSGRB0_TT4_32_TLDS0_UMLDSA0_UMLDSB0_USFGROn1_VAW1_VSn1_VW2_VWB1_VFLRP0_WSGRA0_WSGRB0_WG16_16_1_WGM30
.p2align 8
.type Cijk_Alik_Bljk_DB_MT64x128x16_MI16x16x4x1_SN_1LDSB1_APM1_AF0EM1_AF1EM1_AMAS3_ASE_ASGT_ASLT_ASM_ASAE01_ASCE01_ASEM1_BL0_BS0_CLR0_DTVA0_DTVB0_ETSP_EPS0_ELFLR0_EMLL0_FSSC10_FL0_GLVWA2_GLVWB2_GRCGA1_GRPM1_GRVW2_GSU1_GSUASB_GLS0_IU1_K1_LBSPPA0_LBSPPB0_LPA2_LPB2_LRVW1_LWPMn1_MIAV1_MKFGSU256_NTA0_NTB0_NTC3_NTD3_NEPBS0_NLCA1_NLCB1_ONLL1_PGR2_PLR5_PKA0_SIA3_SLW1_SS1_SU0_SUM0_SUS0_SPO1_SRVW0_SSO8_SVW2_TSGRA0_TSGRB0_TT4_32_TLDS0_UMLDSA0_UMLDSB0_USFGROn1_VAW1_VSn1_VW2_VWB1_VFLRP0_WSGRA0_WSGRB0_WG16_16_1_WGM30,@function
.section .rodata,#alloc
.p2align 6
.amdhsa_kernel Cijk_Alik_Bljk_DB_MT64x128x16_MI16x16x4x1_SN_1LDSB1_APM1_AF0EM1_AF1EM1_AMAS3_ASE_ASGT_ASLT_ASM_ASAE01_ASCE01_ASEM1_BL0_BS0_CLR0_DTVA0_DTVB0_ETSP_EPS0_ELFLR0_EMLL0_FSSC10_FL0_GLVWA2_GLVWB2_GRCGA1_GRPM1_GRVW2_GSU1_GSUASB_GLS0_IU1_K1_LBSPPA0_LBSPPB0_LPA2_LPB2_LRVW1_LWPMn1_MIAV1_MKFGSU256_NTA0_NTB0_NTC3_NTD3_NEPBS0_NLCA1_NLCB1_ONLL1_PGR2_PLR5_PKA0_SIA3_SLW1_SS1_SU0_SUM0_SUS0_SPO1_SRVW0_SSO8_SVW2_TSGRA0_TSGRB0_TT4_32_TLDS0_UMLDSA0_UMLDSB0_USFGROn1_VAW1_VSn1_VW2_VWB1_VFLRP0_WSGRA0_WSGRB0_WG16_16_1_WGM30
  .amdhsa_user_sgpr_kernarg_segment_ptr 1
  .amdhsa_user_sgpr_kernarg_preload_offset 0
  .amdhsa_user_sgpr_kernarg_preload_length 0
  .amdhsa_user_sgpr_count 2
  .amdhsa_accum_offset 256 // accvgpr offset
  .amdhsa_next_free_vgpr 256 // vgprs
  .amdhsa_next_free_sgpr 102 // sgprs
  .amdhsa_group_segment_fixed_size 25088 // lds bytes
  .amdhsa_private_segment_fixed_size 0
  .amdhsa_system_sgpr_workgroup_id_x 1
  .amdhsa_system_sgpr_workgroup_id_y 1
  .amdhsa_system_sgpr_workgroup_id_z 1
  .amdhsa_system_vgpr_workitem_id 0
  .amdhsa_float_denorm_mode_32 3
  .amdhsa_float_denorm_mode_16_64 3
.end_amdhsa_kernel
.text

/******************************************/
/* Optimizations and Config:              */
/******************************************/
/* ThreadTile= 16 x 2 */
/* SubGroup= 4 x 64 */
/* VectorWidthA=2 */
/* VectorWidthB=1 */
/* GlobalLoadVectorWidthA=2, GlobalLoadVectorWidthB=2 */
/* DirectToLdsA=False */
/* DirectToLdsB=False */
/* UseSgprForGRO=False */
.amdgpu_metadata
---
amdhsa.version:
  - 1
  - 1
amdhsa.target: amdgcn-amd-amdhsa--gfx942
amdhsa.kernels:
  - .name: Cijk_Alik_Bljk_DB_MT64x128x16_MI16x16x4x1_SN_1LDSB1_APM1_AF0EM1_AF1EM1_AMAS3_ASE_ASGT_ASLT_ASM_ASAE01_ASCE01_ASEM1_BL0_BS0_CLR0_DTVA0_DTVB0_ETSP_EPS0_ELFLR0_EMLL0_FSSC10_FL0_GLVWA2_GLVWB2_GRCGA1_GRPM1_GRVW2_GSU1_GSUASB_GLS0_IU1_K1_LBSPPA0_LBSPPB0_LPA2_LPB2_LRVW1_LWPMn1_MIAV1_MKFGSU256_NTA0_NTB0_NTC3_NTD3_NEPBS0_NLCA1_NLCB1_ONLL1_PGR2_PLR5_PKA0_SIA3_SLW1_SS1_SU0_SUM0_SUS0_SPO1_SRVW0_SSO8_SVW2_TSGRA0_TSGRB0_TT4_32_TLDS0_UMLDSA0_UMLDSB0_USFGROn1_VAW1_VSn1_VW2_VWB1_VFLRP0_WSGRA0_WSGRB0_WG16_16_1_WGM30
    .symbol: 'Cijk_Alik_Bljk_DB_MT64x128x16_MI16x16x4x1_SN_1LDSB1_APM1_AF0EM1_AF1EM1_AMAS3_ASE_ASGT_ASLT_ASM_ASAE01_ASCE01_ASEM1_BL0_BS0_CLR0_DTVA0_DTVB0_ETSP_EPS0_ELFLR0_EMLL0_FSSC10_FL0_GLVWA2_GLVWB2_GRCGA1_GRPM1_GRVW2_GSU1_GSUASB_GLS0_IU1_K1_LBSPPA0_LBSPPB0_LPA2_LPB2_LRVW1_LWPMn1_MIAV1_MKFGSU256_NTA0_NTB0_NTC3_NTD3_NEPBS0_NLCA1_NLCB1_ONLL1_PGR2_PLR5_PKA0_SIA3_SLW1_SS1_SU0_SUM0_SUS0_SPO1_SRVW0_SSO8_SVW2_TSGRA0_TSGRB0_TT4_32_TLDS0_UMLDSA0_UMLDSB0_USFGROn1_VAW1_VSn1_VW2_VWB1_VFLRP0_WSGRA0_WSGRB0_WG16_16_1_WGM30.kd'
    .language:                   OpenCL C
    .language_version:
      - 2
      - 0
    .args:
      - .name:            Tensor2dSizeA
        .size:            8
        .offset:          0
        .value_kind:      by_value
        .value_type:      u64
      - .name:            Tensor2dSizeB
        .size:            8
        .offset:          8
        .value_kind:      by_value
        .value_type:      u64
      - .name:            AddressD
        .size:            8
        .offset:          16
        .value_kind:      by_value
        .value_type:      u64
      - .name:            AddressC
        .size:            8
        .offset:          24
        .value_kind:      by_value
        .value_type:      u64
      - .name:            AddressA
        .size:            8
        .offset:          32
        .value_kind:      by_value
        .value_type:      u64
      - .name:            AddressB
        .size:            8
        .offset:          40
        .value_kind:      by_value
        .value_type:      u64
      - .name:            Alpha
        .size:            8
        .offset:          48
        .value_kind:      by_value
        .value_type:      u64
      - .name:            Beta
        .size:            8
        .offset:          56
        .value_kind:      by_value
        .value_type:      u64
      - .name:            StridesD
        .size:            8
        .offset:          64
        .value_kind:      by_value
        .value_type:      u64
      - .name:            StridesC
        .size:            8
        .offset:          72
        .value_kind:      by_value
        .value_type:      u64
      - .name:            StridesA
        .size:            8
        .offset:          80
        .value_kind:      by_value
        .value_type:      u64
      - .name:            StridesB
        .size:            8
        .offset:          88
        .value_kind:      by_value
        .value_type:      u64
      - .name:            SizesFree
        .size:            12
        .offset:          96
        .value_kind:      by_value
        .value_type:      u96
      - .name:            SizesSum
        .size:            4
        .offset:          108
        .value_kind:      by_value
        .value_type:      u32
      - .name:            NumWorkGroups0
        .size:            4
        .offset:          112
        .value_kind:      by_value
        .value_type:      u32
      - .name:            NumWorkGroups1
        .size:            4
        .offset:          116
        .value_kind:      by_value
        .value_type:      u32
      - .name:            NumFullBlocks
        .size:            4
        .offset:          120
        .value_kind:      by_value
        .value_type:      u32
      - .name:            WgmRemainder1
        .size:            4
        .offset:          124
        .value_kind:      by_value
        .value_type:      u32
      - .name:            MagicNumberWgmRemainder1
        .size:            4
        .offset:          128
        .value_kind:      by_value
        .value_type:      u32
    .group_segment_fixed_size:   25088
    .kernarg_segment_align:      8
    .kernarg_segment_size:       136
    .max_flat_workgroup_size:    256
    .private_segment_fixed_size: 0
    .sgpr_count:                 102
    .sgpr_spill_count:           0
    .vgpr_count:                 256
    .vgpr_spill_count:           0
    .wavefront_size:             64
...
.end_amdgpu_metadata
Cijk_Alik_Bljk_DB_MT64x128x16_MI16x16x4x1_SN_1LDSB1_APM1_AF0EM1_AF1EM1_AMAS3_ASE_ASGT_ASLT_ASM_ASAE01_ASCE01_ASEM1_BL0_BS0_CLR0_DTVA0_DTVB0_ETSP_EPS0_ELFLR0_EMLL0_FSSC10_FL0_GLVWA2_GLVWB2_GRCGA1_GRPM1_GRVW2_GSU1_GSUASB_GLS0_IU1_K1_LBSPPA0_LBSPPB0_LPA2_LPB2_LRVW1_LWPMn1_MIAV1_MKFGSU256_NTA0_NTB0_NTC3_NTD3_NEPBS0_NLCA1_NLCB1_ONLL1_PGR2_PLR5_PKA0_SIA3_SLW1_SS1_SU0_SUM0_SUS0_SPO1_SRVW0_SSO8_SVW2_TSGRA0_TSGRB0_TT4_32_TLDS0_UMLDSA0_UMLDSB0_USFGROn1_VAW1_VSn1_VW2_VWB1_VFLRP0_WSGRA0_WSGRB0_WG16_16_1_WGM30:

/******************************************/
/* Asm syntax workarounds                 */
/******************************************/
.macro _v_add_co_u32 dst:req, cc:req, src0:req, src1:req, dpp=
   v_add_co_u32 \dst, \cc, \src0, \src1 \dpp
.endm

.macro _v_add_u32 dst:req, src0:req, src1:req, dpp=
   v_add_u32 \dst, \src0, \src1 \dpp
.endm

.macro _v_add_i32 dst:req, src0:req, src1:req, dpp=
   v_add_i32 \dst, \src0, \src1 \dpp
.endm

.macro _v_addc_co_u32 dst:req, ccOut:req, src0:req, ccIn:req, src1:req, dpp=
   v_addc_co_u32 \dst, \ccOut, \src0, \ccIn, \src1 \dpp
.endm

.macro _v_sub_co_u32 dst:req, cc:req, src0:req, src1:req, dpp=
   v_sub_co_u32 \dst, \cc, \src0, \src1 \dpp
.endm

.macro _v_sub_u32 dst:req, src0:req, src1:req, dpp=
   v_sub_u32 \dst, \src0, \src1 \dpp
.endm

.macro _v_sub_i32 dst:req, src0:req, src1:req, dpp=
   v_sub_i32 \dst, \src0, \src1 \dpp
.endm

.macro _v_add_lshl_u32 dst:req, src0:req, src1:req, shiftCnt:req
    v_add_lshl_u32 \dst, \src0, \src1, \shiftCnt
.endm

.macro _v_lshl_add_u32 dst:req, src0:req, src1:req, shiftCnt:req
    v_lshl_add_u32 \dst, \src0, \src1, \shiftCnt
.endm

.macro _v_lshl_or_b32 dst:req, src0:req, shiftCnt:req, src1:req
    v_lshl_or_b32 \dst, \src0, \shiftCnt, \src1
.endm

.macro _v_dot2acc_f32_f16 dst, src0, src1
v_dot2c_f32_f16 \dst, \src0, \src1
.endm

.macro _v_cmpx_lt_i16 dst, src0, src1=
   v_cmpx_lt_i16 \dst, \src0, \src1 
.endm

.macro _v_cmpx_lt_i32 dst, src0, src1=
   v_cmpx_lt_i32 \dst, \src0, \src1 
.endm

.macro _v_cmpx_lt_i64 dst, src0, src1=
   v_cmpx_lt_i64 \dst, \src0, \src1 
.endm

.macro _v_cmpx_lt_u16 dst, src0, src1=
   v_cmpx_lt_u16 \dst, \src0, \src1 
.endm

.macro _v_cmpx_lt_u32 dst, src0, src1=
   v_cmpx_lt_u32 \dst, \src0, \src1 
.endm

.macro _v_cmpx_lt_u64 dst, src0, src1=
   v_cmpx_lt_u64 \dst, \src0, \src1 
.endm

.macro _v_cmpx_eq_i16 dst, src0, src1=
   v_cmpx_eq_i16 \dst, \src0, \src1 
.endm

.macro _v_cmpx_eq_i32 dst, src0, src1=
   v_cmpx_eq_i32 \dst, \src0, \src1 
.endm

.macro _v_cmpx_eq_i64 dst, src0, src1=
   v_cmpx_eq_i64 \dst, \src0, \src1 
.endm

.macro _v_cmpx_eq_u16 dst, src0, src1=
   v_cmpx_eq_u16 \dst, \src0, \src1 
.endm

.macro _v_cmpx_eq_u32 dst, src0, src1=
   v_cmpx_eq_u32 \dst, \src0, \src1 
.endm

.macro _v_cmpx_eq_u64 dst, src0, src1=
   v_cmpx_eq_u64 \dst, \src0, \src1 
.endm

.macro _v_cmpx_le_i16 dst, src0, src1=
   v_cmpx_le_i16 \dst, \src0, \src1 
.endm

.macro _v_cmpx_le_i32 dst, src0, src1=
   v_cmpx_le_i32 \dst, \src0, \src1 
.endm

.macro _v_cmpx_le_i64 dst, src0, src1=
   v_cmpx_le_i64 \dst, \src0, \src1 
.endm

.macro _v_cmpx_le_u16 dst, src0, src1=
   v_cmpx_le_u16 \dst, \src0, \src1 
.endm

.macro _v_cmpx_le_u32 dst, src0, src1=
   v_cmpx_le_u32 \dst, \src0, \src1 
.endm

.macro _v_cmpx_le_u64 dst, src0, src1=
   v_cmpx_le_u64 \dst, \src0, \src1 
.endm

.macro _v_cmpx_gt_i16 dst, src0, src1=
   v_cmpx_gt_i16 \dst, \src0, \src1 
.endm

.macro _v_cmpx_gt_i32 dst, src0, src1=
   v_cmpx_gt_i32 \dst, \src0, \src1 
.endm

.macro _v_cmpx_gt_i64 dst, src0, src1=
   v_cmpx_gt_i64 \dst, \src0, \src1 
.endm

.macro _v_cmpx_gt_u16 dst, src0, src1=
   v_cmpx_gt_u16 \dst, \src0, \src1 
.endm

.macro _v_cmpx_gt_u32 dst, src0, src1=
   v_cmpx_gt_u32 \dst, \src0, \src1 
.endm

.macro _v_cmpx_gt_u64 dst, src0, src1=
   v_cmpx_gt_u64 \dst, \src0, \src1 
.endm

.macro _v_cmpx_ne_i16 dst, src0, src1=
   v_cmpx_ne_i16 \dst, \src0, \src1 
.endm

.macro _v_cmpx_ne_i32 dst, src0, src1=
   v_cmpx_ne_i32 \dst, \src0, \src1 
.endm

.macro _v_cmpx_ne_i64 dst, src0, src1=
   v_cmpx_ne_i64 \dst, \src0, \src1 
.endm

.macro _v_cmpx_ne_u16 dst, src0, src1=
   v_cmpx_ne_u16 \dst, \src0, \src1 
.endm

.macro _v_cmpx_ne_u32 dst, src0, src1=
   v_cmpx_ne_u32 \dst, \src0, \src1 
.endm

.macro _v_cmpx_ne_u64 dst, src0, src1=
   v_cmpx_ne_u64 \dst, \src0, \src1 
.endm

.macro _v_cmpx_lg_i16 dst, src0, src1=
   v_cmpx_lg_i16 \dst, \src0, \src1 
.endm

.macro _v_cmpx_lg_i32 dst, src0, src1=
   v_cmpx_lg_i32 \dst, \src0, \src1 
.endm

.macro _v_cmpx_lg_i64 dst, src0, src1=
   v_cmpx_lg_i64 \dst, \src0, \src1 
.endm

.macro _v_cmpx_lg_u16 dst, src0, src1=
   v_cmpx_lg_u16 \dst, \src0, \src1 
.endm

.macro _v_cmpx_lg_u32 dst, src0, src1=
   v_cmpx_lg_u32 \dst, \src0, \src1 
.endm

.macro _v_cmpx_lg_u64 dst, src0, src1=
   v_cmpx_lg_u64 \dst, \src0, \src1 
.endm

.macro _v_cmpx_ge_i16 dst, src0, src1=
   v_cmpx_ge_i16 \dst, \src0, \src1 
.endm

.macro _v_cmpx_ge_i32 dst, src0, src1=
   v_cmpx_ge_i32 \dst, \src0, \src1 
.endm

.macro _v_cmpx_ge_i64 dst, src0, src1=
   v_cmpx_ge_i64 \dst, \src0, \src1 
.endm

.macro _v_cmpx_ge_u16 dst, src0, src1=
   v_cmpx_ge_u16 \dst, \src0, \src1 
.endm

.macro _v_cmpx_ge_u32 dst, src0, src1=
   v_cmpx_ge_u32 \dst, \src0, \src1 
.endm

.macro _v_cmpx_ge_u64 dst, src0, src1=
   v_cmpx_ge_u64 \dst, \src0, \src1 
.endm

.macro _v_cmpx_o_i16 dst, src0, src1=
   v_cmpx_o_i16 \dst, \src0, \src1 
.endm

.macro _v_cmpx_o_i32 dst, src0, src1=
   v_cmpx_o_i32 \dst, \src0, \src1 
.endm

.macro _v_cmpx_o_i64 dst, src0, src1=
   v_cmpx_o_i64 \dst, \src0, \src1 
.endm

.macro _v_cmpx_o_u16 dst, src0, src1=
   v_cmpx_o_u16 \dst, \src0, \src1 
.endm

.macro _v_cmpx_o_u32 dst, src0, src1=
   v_cmpx_o_u32 \dst, \src0, \src1 
.endm

.macro _v_cmpx_o_u64 dst, src0, src1=
   v_cmpx_o_u64 \dst, \src0, \src1 
.endm

.macro _v_cmpx_u_i16 dst, src0, src1=
   v_cmpx_u_i16 \dst, \src0, \src1 
.endm

.macro _v_cmpx_u_i32 dst, src0, src1=
   v_cmpx_u_i32 \dst, \src0, \src1 
.endm

.macro _v_cmpx_u_i64 dst, src0, src1=
   v_cmpx_u_i64 \dst, \src0, \src1 
.endm

.macro _v_cmpx_u_u16 dst, src0, src1=
   v_cmpx_u_u16 \dst, \src0, \src1 
.endm

.macro _v_cmpx_u_u32 dst, src0, src1=
   v_cmpx_u_u32 \dst, \src0, \src1 
.endm

.macro _v_cmpx_u_u64 dst, src0, src1=
   v_cmpx_u_u64 \dst, \src0, \src1 
.endm
.macro _v_mac_f32 c:req, a:req, b:req
    v_fmac_f32 \c, \a, \b
.endmacro

/* scale global load macros */
.macro _s_load_b32 dst base offset
    s_load_dword \dst \base \offset
.endm

.macro _s_load_b64 dst base offset
    s_load_dwordx2 \dst \base \offset
.endm

.macro _s_load_b128 dst base offset
    s_load_dwordx4 \dst \base \offset
.endm

.macro _s_load_b256 dst base offset
    s_load_dwordx8 \dst \base \offset
.endm

.macro _s_load_b512 dst base offset
    s_load_dwordx16 \dst \base \offset
.endm


/* ds operation macros */
.macro _ds_load_u8 dst src offset
    ds_read_u8 \dst \src \offset
.endm

.macro _ds_load_u8_d16_hi dst src offset
    ds_read_u8_d16_hi \dst \src \offset
.endm

.macro _ds_load_u16 dst src offset
    ds_read_u16 \dst \src \offset
.endm

.macro _ds_load_u16_d16_hi dst src offset
    ds_read_u16_d16_hi \dst \src \offset
.endm

.macro _ds_load_b32 dst src offset
    ds_read_b32 \dst \src \offset
.endm

.macro _ds_load_b64 dst src offset
    ds_read_b64 \dst \src \offset
.endm

.macro _ds_load_b128 dst src offset
    ds_read_b128 \dst \src \offset
.endm

.macro _ds_store_b8 dst src offset
    ds_write_b8 \dst \src \offset
.endm

.macro _ds_store_b8_d16_hi dst src offset
    ds_write_b8_d16_hi \dst \src \offset
.endm

.macro _ds_store_b16 dst src offset
    ds_write_b16 \dst \src \offset
.endm

.macro _ds_store_b16_d16_hi dst src offset
    ds_write_b16_d16_hi \dst \src \offset
.endm

.macro _ds_store_b32 dst src offset
    ds_write_b32 \dst \src \offset
.endm

.macro _ds_store_b64 dst src offset
    ds_write_b64 \dst \src \offset
.endm

.macro _ds_store_b128 dst src offset
    ds_write_b128 \dst \src \offset
.endm

.macro _ds_load2_b32 dst src offset1 offset2
    ds_read2_b32 \dst \src \offset1 \offset2
.endm

.macro _ds_load2_b64 dst src offset1 offset2
    ds_read2_b64 \dst \src \offset1 \offset2
.endm

.macro _ds_store2_b32 dst src offset1 offset2
    ds_write2_b32 \dst \src \offset1 \offset2
.endm

.macro _ds_store2_b64 dst src offset1 offset2
    ds_write2_b64 \dst \src \offset1 \offset2
.endm


/* buffer memory operation macros */
.macro _buffer_load_b32 dst voffset base soffset offen ioffset md0 md1 md2
    buffer_load_dword \dst \voffset \base \soffset \offen \ioffset \md0 \md1 \md2
.endm

.macro _buffer_load_b64 dst voffset base soffset offen ioffset md0 md1 md2
    buffer_load_dwordx2 \dst \voffset \base \soffset \offen \ioffset \md0 \md1 \md2
.endm

.macro _buffer_load_b96 dst voffset base soffset offen ioffset md0 md1 md2
    buffer_load_dwordx3 \dst \voffset \base \soffset \offen \ioffset \md0 \md1 \md2
.endm

.macro _buffer_load_b128 dst voffset base soffset offen ioffset md0 md1 md2
    buffer_load_dwordx4 \dst \voffset \base \soffset \offen \ioffset \md0 \md1 \md2
.endm

.macro _buffer_load_d16_b16 dst voffset base soffset offen ioffset md0 md1 md2
    buffer_load_short_d16 \dst \voffset \base \soffset \offen \ioffset \md0 \md1 \md2
.endm

.macro _buffer_load_d16_hi_b16 dst voffset base soffset offen ioffset md0 md1 md2
    buffer_load_short_d16_hi \dst \voffset \base \soffset \offen \ioffset \md0 \md1 \md2
.endm

.macro _buffer_load_d16_u8 dst voffset base soffset offen ioffset md0 md1 md2
    buffer_load_ubyte_d16 \dst \voffset \base \soffset \offen \ioffset \md0 \md1 \md2
.endm

.macro _buffer_load_d16_hi_u8 dst voffset base soffset offen ioffset md0 md1 md2
    buffer_load_ubyte_d16_hi \dst \voffset \base \soffset \offen \ioffset \md0 \md1 \md2
.endm

.macro _buffer_load_u16 dst voffset base soffset offen ioffset md0 md1 md2
    buffer_load_ushort \dst \voffset \base \soffset \offen \ioffset \md0 \md1 \md2
.endm

.macro _buffer_load_b32_dtl voffset base soffset offen ioffset md0 md1 md2
    buffer_load_dword \voffset \base \soffset \offen \ioffset \md0 \md1 \md2
.endm

.macro _buffer_load_b64_dtl voffset base soffset offen ioffset md0 md1 md2
    buffer_load_dwordx2 \voffset \base \soffset \offen \ioffset \md0 \md1 \md2
.endm

.macro _buffer_load_b128_dtl voffset base soffset offen ioffset md0 md1 md2
    buffer_load_dwordx4 \voffset \base \soffset \offen \ioffset \md0 \md1 \md2
.endm

.macro _buffer_load_u16_dtl voffset base soffset offen ioffset md0 md1 md2
    buffer_load_ushort \voffset \base \soffset \offen \ioffset \md0 \md1 \md2
.endm

.macro _buffer_store_b32 src voffset base soffset offen ioffset md0 md1 md2
    buffer_store_dword \src \voffset \base \soffset \offen \ioffset \md0 \md1 \md2
.endm

.macro _buffer_store_b64 src voffset base soffset offen ioffset md0 md1 md2
    buffer_store_dwordx2 \src \voffset \base \soffset \offen \ioffset \md0 \md1 \md2
.endm

.macro _buffer_store_b96 src voffset base soffset offen ioffset md0 md1 md2
    buffer_store_dwordx3 \src \voffset \base \soffset \offen \ioffset \md0 \md1 \md2
.endm

.macro _buffer_store_b128 src voffset base soffset offen ioffset md0 md1 md2
    buffer_store_dwordx4 \src \voffset \base \soffset \offen \ioffset \md0 \md1 \md2
.endm

.macro _buffer_store_b16 src voffset base soffset offen ioffset md0 md1 md2
    buffer_store_short \src \voffset \base \soffset \offen \ioffset \md0 \md1 \md2
.endm

.macro _buffer_store_d16_hi_b16 src voffset base soffset offen ioffset md0 md1 md2
    buffer_store_short_d16_hi \src \voffset \base \soffset \offen \ioffset \md0 \md1 \md2
.endm

.macro _buffer_store_b8 src voffset base soffset offen ioffset md0 md1 md2
    buffer_store_byte \src \voffset \base \soffset \offen \ioffset \md0 \md1 \md2
.endm

.macro _buffer_store_d16_hi_b8 src voffset base soffset offen ioffset md0 md1 md2
    buffer_store_byte_d16_hi \src \voffset \base \soffset \offen \ioffset \md0 \md1 \md2
.endm

.macro _buffer_atomic_cmpswap_b32 dst voffset base soffset offen ioffset md0 md1 md2
    buffer_atomic_cmpswap \dst \voffset \base \soffset \offen \ioffset \md0 \md1 \md2
.endm

.macro _buffer_atomic_cmpswap_b64 dst voffset base soffset offen ioffset md0 md1 md2
    buffer_atomic_cmpswap_x2 \dst \voffset \base \soffset \offen \ioffset \md0 \md1 \md2
.endm


/* buffer memory operation macros */
.macro _global_load_b32 dst base src ioffset md0 md1 md2
    global_load_dword \dst \base \src \ioffset \md0 \md1 \md2
.endm

.macro _global_load_b64 dst base src ioffset md0 md1 md2
    global_load_dwordx2 \dst \base \src \ioffset \md0 \md1 \md2
.endm

.macro _global_load_b96 dst base src ioffset md0 md1 md2
    global_load_dwordx3 \dst \base \src \ioffset \md0 \md1 \md2
.endm

.macro _global_load_b128 dst base src ioffset md0 md1 md2
    global_load_dwordx4 \dst \base \src \ioffset \md0 \md1 \md2
.endm

.macro _global_load_d16_b16 dst base src ioffset md0 md1 md2
    global_load_short_d16 \dst \base \src \ioffset \md0 \md1 \md2
.endm

.macro _global_load_d16_hi_b16 dst base src ioffset md0 md1 md2
    global_load_short_d16_hi \dst \base \src \ioffset \md0 \md1 \md2
.endm

.macro _global_load_d16_u8 dst base src ioffset md0 md1 md2
    global_load_ubyte_d16 \dst \base \src \ioffset \md0 \md1 \md2
.endm

.macro _global_load_d16_hi_u8 dst base src ioffset md0 md1 md2
    global_load_ubyte_d16_hi \dst \base \src \ioffset \md0 \md1 \md2
.endm

.macro _global_load_u16 dst base src ioffset md0 md1 md2
    global_load_ushort \dst \base \src \ioffset \md0 \md1 \md2
.endm

.macro _global_store_b32 base src src2 md0 md1 md2
    global_store_dword \base \src \src2 \md0 \md1 \md2
.endm

.macro _global_store_b64 base src src2 md0 md1 md2
    global_store_dwordx2 \base \src \src2 \md0 \md1 \md2
.endm

.macro _global_store_b96 base src src2 md0 md1 md2
    global_store_dwordx3 \base \src \src2 \md0 \md1 \md2
.endm

.macro _global_store_b128 base src src2 md0 md1 md2
    global_store_dwordx4 \base \src \src2 \md0 \md1 \md2
.endm

.macro _global_store_d16_b16 base src src2 md0 md1 md2
    global_store_short \base \src \src2 \md0 \md1 \md2
.endm

.macro _global_store_d16_hi_b16 base src src2 md0 md1 md2
    global_store_short_d16_hi \base \src \src2 \md0 \md1 \md2
.endm

.macro _global_store_d16_u8 base src src2 md0 md1 md2
    global_store_ubyte_d16 \base \src \src2 \md0 \md1 \md2
.endm

.macro _global_store_d16_hi_u8 base src src2 md0 md1 md2
    global_store_ubyte_d16_hi \base \src \src2 \md0 \md1 \md2
.endm

.macro _global_store_u16 base src src2 md0 md1 md2
    global_store_ushort \base \src \src2 \md0 \md1 \md2
.endm

.macro _global_atomic_cmpswap_b32 tmp base data src ioffset md
    global_atomic_cmpswap \tmp \base \data \src \ioffset \md
.endm

.macro _global_atomic_cmpswap_b64 tmp base data src ioffset md
    global_atomic_cmpswap_x2 \tmp \base \data \src \ioffset \md
.endm


/******************************************/
/* Magic div and mod functions            */
/******************************************/
.macro V_MAGIC_DIV dstIdx:req, dividend:req, magicNumber:req, magicShift:req, magicA:req
    v_mul_hi_u32 v[\dstIdx+1], \dividend, \magicNumber
    v_mul_lo_u32 v[\dstIdx+0], \dividend, \magicA
    _v_add_u32 v[\dstIdx+0], v[\dstIdx+0], v[\dstIdx+1]
    v_lshrrev_b32 v[\dstIdx+0], \magicShift, v[\dstIdx+0]
.endm

/******************************************/
/* VGPR Assignments                       */
/******************************************/
/* ValuC range: [0-64), serializedStore enabled */
.set vgprValuC, 0
/* ValuA/B   Xn=PLR buffer idx,  In=InnerUnroll idx */
.set vgprValuA_X0_I0, 64
.set vgprValuA_X1_I0, 72
.set vgprValuA_X2_I0, 80
.set vgprValuA_X3_I0, 88
.set vgprG2LA, 130
.set vgprValuB_X0_I0, 96
.set vgprValuB_X1_I0, 100
.set vgprValuB_X2_I0, 104
.set vgprValuB_X3_I0, 108
.set vgprG2LB, 138
.set vgprLocalWriteAddrA, 112
.set vgprLocalWriteAddrB, 113
.set vgprGlobalReadAddrA, 114
.set vgprGlobalReadAddrB, 118
.set vgprGlobalReadIncsA, 126
.set vgprGlobalReadIncsB, 128
.set vgprLocalReadAddrA, 154
.set vgprLocalReadAddrB, 155
.set vgprSerial, 156
/* Num VGPR=256 */
/* Num AccVGPR=0 */

/******************************************/
/* SGPR Assignments                       */
/******************************************/
.set sgprKernArgAddress, 0 // (2)
.set sgprWorkGroup0, 2 // (1)
.set sgprWorkGroup1, 3 // (1)
.set sgprWorkGroup2, 4 // (1)
.set sgprLoopCounterL, 5 // (1)
.set sgprOrigLoopCounter, 6 // (1)
.set sgprTensor2dSizeA, 8 // (2)
.set sgprTensor2dSizeB, 10 // (2)
.set sgprAddressD, 12 // (2)
.set sgprAddressC, 14 // (2)
.set sgprAddressA, 16 // (2)
.set sgprAddressB, 18 // (2)
.set sgprAlpha, 20 // (2)
.set sgprBeta, 22 // (2)
.set sgprStridesD, 24 // (2)
.set sgprStridesC, 26 // (2)
.set sgprStridesA, 28 // (2)
.set sgprStridesB, 30 // (2)
.set sgprSizesFree, 32 // (3)
.set sgprSizesSum, 35 // (1)
.set sgprNumWorkGroups0, 36 // (1)
.set sgprNumWorkGroups1, 37 // (1)
.set sgprNumFullBlocks, 38 // (1)
.set sgprWgmRemainder1, 39 // (1)
.set sgprMagicNumberWgmRemainder1, 40 // (1)
/* max SGPR=102 */

/* Size Assignments */
.set sgprSizeI, sgprSizesFree+0
.set sgprSizeJ, sgprSizesFree+1
.set sgprSizeK, sgprSizesFree+2
.set sgprSizeL, sgprSizesSum+0

/* Stride Assignments */
.set constStrideD0I, 1
.set sgprStrideD1J, sgprStridesD+0
.set sgprStrideDK, sgprStridesD+1
.set constStrideC0I, 1
.set sgprStrideC1J, sgprStridesC+0
.set sgprStrideCK, sgprStridesC+1
.set constStrideAL, 1
.set sgprStrideA0I, sgprStridesA+0
.set sgprStrideAK, sgprStridesA+1
.set constStrideBL, 1
.set sgprStrideB1J, sgprStridesB+0
.set sgprStrideBK, sgprStridesB+1

.set MT0, 64
.set MT1, 128
.set DepthU, 16
.set GSU, 1
.set BpeA, 8
.set BpeALog2, 3
.set BpeB, 8
.set BpeBLog2, 3
/* Number of elements to shift-left SRD */
.set SrdShiftLeftA, 2
.set SrdShiftLeftB, 2

/* Global Offset D */
.macro GLOBAL_OFFSET_D vgprAddr:req vgprOffset0I:req vgprOffset1J:req sgprOffsetK:req vgprTmp:req
v_mul_lo_u32 v[\vgprTmp+0], s[sgprStrideD1J], v[\vgprOffset1J] // mul d1 lower
v_mul_hi_u32 v[\vgprTmp+1], s[sgprStrideD1J], v[\vgprOffset1J] // mul d1 upper
_v_add_co_u32 v[\vgprAddr+0], vcc, v[\vgprOffset0I], v[\vgprTmp+0] // accumulate K lower
_v_addc_co_u32 v[\vgprAddr+1], vcc, v[\vgprTmp+1], 0, vcc // accumulate K upper
v_mov_b32 v[\vgprTmp+2], s[\sgprOffsetK]           // sgprOffset -> vgprTmp+2
v_mul_lo_u32 v[\vgprTmp+0], s[sgprStrideDK], v[\vgprTmp+2] // other stride mul d2 lower
v_mul_hi_u32 v[\vgprTmp+1], s[sgprStrideDK], v[\vgprTmp+2] // mul d2 upper
_v_add_co_u32 v[\vgprAddr+0], vcc, v[\vgprAddr+0], v[\vgprTmp+0] // accumulate K lower
_v_addc_co_u32 v[\vgprAddr+1], vcc, v[\vgprTmp+1], v[\vgprAddr+1], vcc // accumulate K upper
v_lshlrev_b64 v[\vgprAddr+0:\vgprAddr+1], 0x3, v[\vgprAddr+0:\vgprAddr+1] // offset *= bytes/element
.endm

/* Global Offset C */
.macro GLOBAL_OFFSET_C vgprAddr:req vgprOffset0I:req vgprOffset1J:req sgprOffsetK:req vgprTmp:req
v_mul_lo_u32 v[\vgprTmp+0], s[sgprStrideC1J], v[\vgprOffset1J] // mul d1 lower
v_mul_hi_u32 v[\vgprTmp+1], s[sgprStrideC1J], v[\vgprOffset1J] // mul d1 upper
_v_add_co_u32 v[\vgprAddr+0], vcc, v[\vgprOffset0I], v[\vgprTmp+0] // accumulate K lower
_v_addc_co_u32 v[\vgprAddr+1], vcc, v[\vgprTmp+1], 0, vcc // accumulate K upper
v_mov_b32 v[\vgprTmp+2], s[\sgprOffsetK]           // sgprOffset -> vgprTmp+2
v_mul_lo_u32 v[\vgprTmp+0], s[sgprStrideCK], v[\vgprTmp+2] // other stride mul d2 lower
v_mul_hi_u32 v[\vgprTmp+1], s[sgprStrideCK], v[\vgprTmp+2] // mul d2 upper
_v_add_co_u32 v[\vgprAddr+0], vcc, v[\vgprAddr+0], v[\vgprTmp+0] // accumulate K lower
_v_addc_co_u32 v[\vgprAddr+1], vcc, v[\vgprTmp+1], v[\vgprAddr+1], vcc // accumulate K upper
v_lshlrev_b64 v[\vgprAddr+0:\vgprAddr+1], 0x3, v[\vgprAddr+0:\vgprAddr+1] // offset *= bytes/element
.endm

/* Global Offset A */
.macro GLOBAL_OFFSET_A vgprAddr:req vgprOffsetL:req vgprOffset0I:req sgprOffsetK:req vgprTmp:req
v_mul_lo_u32 v[\vgprTmp+0], s[sgprStrideA0I], v[\vgprOffset0I] // mul d1 lower
v_mul_hi_u32 v[\vgprTmp+1], s[sgprStrideA0I], v[\vgprOffset0I] // mul d1 upper
_v_add_co_u32 v[\vgprAddr+0], vcc, v[\vgprOffsetL], v[\vgprTmp+0] // accumulate K lower
_v_addc_co_u32 v[\vgprAddr+1], vcc, v[\vgprTmp+1], 0, vcc // accumulate K upper
v_mov_b32 v[\vgprTmp+2], s[\sgprOffsetK]           // sgprOffset -> vgprTmp+2
v_mul_lo_u32 v[\vgprTmp+0], s[sgprStrideAK], v[\vgprTmp+2] // other stride mul d2 lower
v_mul_hi_u32 v[\vgprTmp+1], s[sgprStrideAK], v[\vgprTmp+2] // mul d2 upper
_v_add_co_u32 v[\vgprAddr+0], vcc, v[\vgprAddr+0], v[\vgprTmp+0] // accumulate K lower
_v_addc_co_u32 v[\vgprAddr+1], vcc, v[\vgprTmp+1], v[\vgprAddr+1], vcc // accumulate K upper
v_lshlrev_b64 v[\vgprAddr+0:\vgprAddr+1], 0x3, v[\vgprAddr+0:\vgprAddr+1] // offset *= bytes/element
.endm

/* Global Offset B */
.macro GLOBAL_OFFSET_B vgprAddr:req vgprOffsetL:req vgprOffset1J:req sgprOffsetK:req vgprTmp:req
v_mul_lo_u32 v[\vgprTmp+0], s[sgprStrideB1J], v[\vgprOffset1J] // mul d1 lower
v_mul_hi_u32 v[\vgprTmp+1], s[sgprStrideB1J], v[\vgprOffset1J] // mul d1 upper
_v_add_co_u32 v[\vgprAddr+0], vcc, v[\vgprOffsetL], v[\vgprTmp+0] // accumulate K lower
_v_addc_co_u32 v[\vgprAddr+1], vcc, v[\vgprTmp+1], 0, vcc // accumulate K upper
v_mov_b32 v[\vgprTmp+2], s[\sgprOffsetK]           // sgprOffset -> vgprTmp+2
v_mul_lo_u32 v[\vgprTmp+0], s[sgprStrideBK], v[\vgprTmp+2] // other stride mul d2 lower
v_mul_hi_u32 v[\vgprTmp+1], s[sgprStrideBK], v[\vgprTmp+2] // mul d2 upper
_v_add_co_u32 v[\vgprAddr+0], vcc, v[\vgprAddr+0], v[\vgprTmp+0] // accumulate K lower
_v_addc_co_u32 v[\vgprAddr+1], vcc, v[\vgprTmp+1], v[\vgprAddr+1], vcc // accumulate K upper
v_lshlrev_b64 v[\vgprAddr+0:\vgprAddr+1], 0x3, v[\vgprAddr+0:\vgprAddr+1] // offset *= bytes/element
.endm

/******************************************/
/* Dynamic Scalar Divide: vQuotient=vDividend/vDivisor; vRemainder=vDividend%vDivisor; */
/******************************************/
.macro DYNAMIC_VECTOR_DIVIDE vQuotient vRemainder vDividend vDivisor vTmp0 vTmp1 sTmp
v_cvt_f32_u32 v[\vQuotient], v[\vDivisor]          // 
v_rcp_f32 v[\vQuotient], v[\vQuotient]             // 
v_mul_f32 v[\vQuotient], 0x4f800000, v[\vQuotient] // 
v_cvt_u32_f32 v[\vQuotient], v[\vQuotient]         // 
v_mul_lo_u32 v[\vRemainder], v[\vDivisor], v[\vQuotient] // 
v_mul_hi_u32 v[\vTmp0], v[\vDivisor], v[\vQuotient] // 
_v_sub_co_u32 v[\vTmp1], vcc, 0x0, v[\vRemainder]  // 
v_cmp_ne_i32 s[\sTmp:\sTmp+1], 0x0, v[\vTmp0]      // 
v_cndmask_b32 v[\vRemainder], v[\vTmp1], v[\vRemainder], s[\sTmp:\sTmp+1] // 
v_mul_hi_u32 v[\vRemainder], v[\vRemainder], v[\vQuotient] // 
_v_sub_co_u32 v[\vTmp0], vcc, v[\vQuotient], v[\vRemainder] // 
_v_add_co_u32 v[\vQuotient], vcc, v[\vQuotient], v[\vRemainder] // 
v_cndmask_b32 v[\vQuotient], v[\vQuotient], v[\vTmp0], s[\sTmp:\sTmp+1] // 
v_mul_hi_u32 v[\vQuotient], v[\vQuotient], v[\vDividend] // 
v_mul_lo_u32 v[\vRemainder], v[\vQuotient], v[\vDivisor] // 
_v_sub_co_u32 v[\vTmp0], vcc, v[\vDividend], v[\vRemainder] // 
v_cmp_ge_u32 s[\sTmp:\sTmp+1], v[\vDividend], v[\vRemainder] // 
_v_add_co_u32 v[\vRemainder], vcc, 0x1, v[\vQuotient] // 
_v_add_co_u32 v[\vTmp1], vcc, -1, v[\vQuotient]    // 
v_cmp_le_u32 vcc, v[\vDivisor], v[\vTmp0]          // 
s_and_b64 vcc, s[\sTmp:\sTmp+1], vcc               // 
v_cndmask_b32 v[\vQuotient], v[\vQuotient], v[\vRemainder], vcc // 
v_cndmask_b32 v[\vQuotient], v[\vTmp1], v[\vQuotient], s[\sTmp:\sTmp+1] // 
v_cmp_ne_i32 vcc, 0x0, v[\vDivisor]                // 
v_cndmask_b32 v[\vQuotient], -1, v[\vQuotient], vcc // final result
v_mul_lo_u32 v[\vRemainder], v[\vQuotient], v[\vDivisor] // 
_v_sub_co_u32 v[\vRemainder], vcc, v[\vDividend], v[\vRemainder] // final result
.endm


	;; [unrolled: 1-line block ×3, first 2 shown]
/******************************************/
/* Allocate Resources                     */
/******************************************/

Cijk_Alik_Bljk_DB_MT64x128x16_MI16x16x4x1_SN_1LDSB1_APM1_AF0EM1_AF1EM1_AMAS3_ASE_ASGT_ASLT_ASM_ASAE01_ASCE01_ASEM1_BL0_BS0_CLR0_DTVA0_DTVB0_ETSP_EPS0_ELFLR0_EMLL0_FSSC10_FL0_GLVWA2_GLVWB2_GRCGA1_GRPM1_GRVW2_GSU1_GSUASB_GLS0_IU1_K1_LBSPPA0_LBSPPB0_LPA2_LPB2_LRVW1_LWPMn1_MIAV1_MKFGSU256_NTA0_NTB0_NTC3_NTD3_NEPBS0_NLCA1_NLCB1_ONLL1_PGR2_PLR5_PKA0_SIA3_SLW1_SS1_SU0_SUM0_SUS0_SPO1_SRVW0_SSO8_SVW2_TSGRA0_TSGRB0_TT4_32_TLDS0_UMLDSA0_UMLDSB0_USFGROn1_VAW1_VSn1_VW2_VWB1_VFLRP0_WSGRA0_WSGRB0_WG16_16_1_WGM30_preloaded: // Kernel start when preloading
s_setprio 3                                        // optimization store

/* Load Kernel Args */
_s_load_b512 s[8:23], s[sgprKernArgAddress:sgprKernArgAddress+1], 0x0 // 
_s_load_b512 s[24:39], s[sgprKernArgAddress:sgprKernArgAddress+1], 0x40 // 
_s_load_b32 s40, s[sgprKernArgAddress:sgprKernArgAddress+1], 0x80 // 
s_mov_b32 m0, 0x6200                               // LDS clamp at 25088 bytes
v_mov_b32 v[vgprSerial], v0                        // thread serial id

/******************************************/
/* Local Read Addresses                   */
/******************************************/


/* local read addresses: tile assignments a/b */

/*lr0I*/
v_and_b32 v1, 63, v[vgprSerial]                    // 0. thread id in wave: wtid = tid % wavelength(64)
v_and_b32 v0, 15, v1                               // 1. N offset: nIdx = wtid % MI_N(16)
                                                   // 1. N offset: nOffset = nIdx * nStride(1) (multiplier is 1, do nothing)
                                                   // 2. block offset: bnIdx = bnIdx % num1DBlocks(1) is 0. do nothing
v_lshlrev_b32 v0, 0x1, v0                          // 4. apply VectorWidth: bnOffset = bnOffset * vw(2)
v_lshrrev_b32 v1, 4, v1                            // 5. K offset: kIdx = wtid / (MIN(16) * MIBB(1))
s_mov_b32 s7, 0x42                                 // 5. K offset: lrKOffset = kIdx * mStride(66)
v_mul_lo_u32 v1, s7, v1                            // 5. K offset: lrKOffset = kIdx * mStride(66)
_v_add_u32 v0, v1, v0                              // 6. offset in wave: lrOffset = bnOffset + lrKOffset
/*lr1J*/
v_and_b32 v2, 63, v[vgprSerial]                    // 0. thread id in wave: wtid = tid % wavelength(64)
v_and_b32 v1, 15, v2                               // 1. N offset: nIdx = wtid % MI_N(16)
                                                   // 1. N offset: nOffset = nIdx * nStride(1) (multiplier is 1, do nothing)
                                                   // 2. block offset: bnIdx = bnIdx % num1DBlocks(1) is 0. do nothing
                                                   // 4. apply VectorWidth: bnOffset = bnOffset * vw(1) (multiplier is 1, do nothing)
v_lshrrev_b32 v2, 4, v2                            // 5. K offset: kIdx = wtid / (MIN(16) * MIBB(1))
s_mov_b32 s7, 0x82                                 // 5. K offset: lrKOffset = kIdx * mStride(130)
v_mul_lo_u32 v2, s7, v2                            // 5. K offset: lrKOffset = kIdx * mStride(130)
_v_add_u32 v1, v2, v1                              // 6. offset in wave: lrOffset = bnOffset + lrKOffset
v_lshrrev_b32 v3, 6, v[vgprSerial]                 // 7. wave offset in N dimen: wtid = tid / dividedForWaveId(64)
v_and_b32 v2, 3, v3                                // 7. wave offset in M dimen: wtid0 = wtid / num1DWaves(4)
v_lshlrev_b32 v2, 0x4, v2                          // 7. wave offset in M dimen: wOffset = wtid0 * W0Stride(16)
_v_add_u32 v1, v2, v1                              // 8. final local read offset: flrOffset = lrOffset + WOffset


/* local read addresses: final offsets a */

v_lshlrev_b32 v[vgprLocalReadAddrA], 0x3, v0       // Final Offset: offset = (lro0)*bpe


/* local read addresses: final offsets b */

v_lshlrev_b32 v[vgprLocalReadAddrB], 0x3, v1       // Final Offset: offset = (lro1)*bpe


/* local read addresses: declare addresses a */

/* N/A */


/* local read addresses: declare addresses b */

_v_add_co_u32 v[vgprLocalReadAddrB+0], vcc, 0x2100, v[vgprLocalReadAddrB+0] //  += LdsOffsetB (lower)
s_waitcnt lgkmcnt(0)                               // wait for 132 bytes of kern args


/* Short circuit condition if Alpha == 0, then sumDims=0 */
v_cmp_eq_f64 vcc, s[sgprAlpha:sgprAlpha+1], 0.0    // Alpha == 0.0 ?
s_cbranch_vccz label_AlphaNonZero                  // branch if Alpha != 0
s_mov_b32 s[sgprSizesSum+0], 0x0                   // Set summation dim=0 if Alpha == 0
label_AlphaNonZero:


	;; [unrolled: 1-line block ×3, first 2 shown]
/******************************************/
/* Begin setupNewTile, isPap=False           */
/******************************************/


/* global read addresses: work-group */

/* graWorkGroup mapping */
s_mov_b32 s45, 0x4444445L                          // magic number for WGM==30
s_mul_hi_u32 s43, s[sgprWorkGroup1], s45           // s_magic mul
s_mul_i32 s42, s[sgprWorkGroup1], s45              // s_magic mul
s_lshr_b64 s[42:43], s[42:43], 31                  // sMagicDiv
s_mul_i32 s43, s42, 30                             // quotient * non-magic divisor
s_sub_u32 s43, s[sgprWorkGroup1], s43              // WorkGroup1=remainder
s_mul_i32 s43, s43, s[sgprNumWorkGroups0]          // (wg1 % WGM)*nwg0
s_add_u32 s43, s43, s[sgprWorkGroup0]              // wgSerial = wg0 + (wg1 % WGM)*nwg1
s_cmp_ge_u32 s42, s[sgprNumFullBlocks]             // blockId >= numFullBlocks ?
s_cmov_b32 s45, s[sgprMagicNumberWgmRemainder1]    // 
s_cselect_b32 s44, s[sgprWgmRemainder1], 30        // 
s_mul_hi_u32 s3, s43, s45                          // s_magic mul
s_mul_i32 s2, s43, s45                             // s_magic mul
s_lshr_b64 s[2:3], s[2:3], 31                      // sMagicDiv
s_mul_i32 s[sgprWorkGroup1], s[sgprWorkGroup0], s44 // quotient * non-magic divisor
s_sub_u32 s[sgprWorkGroup1], s43, s[sgprWorkGroup1] // WorkGroup1=remainder
s_mul_i32 s42, s42, 30                             // blockId * WGM
s_add_u32 s[sgprWorkGroup1], s[sgprWorkGroup1], s42 // wg1 += blockId * WGM


/* global read addresses: tile offset assignment a */

/* LVCA = 8 */
/* v2 = groA-tile = serial/LVCA + (wgA*MTA) */
/* v1 = groA-unroll = serial%LVCA */
v_lshrrev_b32 v0, 3, v[vgprSerial]                 // v0 = v[vgprSerial] / 8
v_and_b32 v1, 7, v[vgprSerial]                     // v1 = v[vgprSerial] % 8
/* gro-unroll *= glvw */
v_lshlrev_b32 v1, 0x1, v1                          // v1 = v1 * 2
v_lshlrev_b32 v3, 0x6, s[sgprWorkGroup0]           // v3 = s[sgprWorkGroup0] * 64
_v_add_co_u32 v2, vcc, v3, v0                      // groA-tile = serial/LVCA*VW + (wgA*MTA)


/* global read addresses: tile offset assignment b */

/* LVCB = 8 */
/* v5 = groB-tile = serial/LVCB + (wgB*MTB) */
/* v4 = groB-unroll = serial%LVCB */
v_lshrrev_b32 v3, 3, v[vgprSerial]                 // v3 = v[vgprSerial] / 8
v_and_b32 v4, 7, v[vgprSerial]                     // v4 = v[vgprSerial] % 8
/* gro-unroll *= glvw */
v_lshlrev_b32 v4, 0x1, v4                          // v4 = v4 * 2
v_lshlrev_b32 v6, 0x7, s[sgprWorkGroup1]           // v6 = s[sgprWorkGroup1] * 128
_v_add_co_u32 v5, vcc, v6, v3                      // groB-tile = serial/LVCB*VW + (wgB*MTB)


/* global read addresses: unroll assignment a */

/* v1 */


/* global read addresses: unroll assignment b */

/* v4 */


/* global read addresses: other free assignments */

/* s[sgprWorkGroup2] */


/* global read addresses: tile offsets a */

v_mov_b32 v6, v2                                   // groA0I_0
_v_add_co_u32 v7, vcc, 32, v6                      // groA0I_1 += LSPA


/* global read addresses: tile offsets b */

v_mov_b32 v8, v5                                   // groB1J_0
_v_add_co_u32 v9, vcc, 32, v8                      // groB1J_1 += LSPB
_v_add_co_u32 v10, vcc, 32, v9                     // groB1J_2 += LSPB
_v_add_co_u32 v11, vcc, 32, v10                    // groB1J_3 += LSPB


/* global read addresses: unroll offsets a */

v_mov_b32 v2, v1                                   // groAL_0


/* global read addresses: unroll offsets b */

v_mov_b32 v5, v4                                   // groBL_0


/* global read addresses: shift a */

s_sub_u32 s0, s[sgprSizeI], 1                      // edge = Size0I-1
v_mov_b32 v12, s0                                  // edge vgpr = Size0I-1
v_cmp_lt_u32 s[0:1], v6, v12                       // shiftedOffset < shiftedEdge
v_cndmask_b32 v6, v12, v6, s[0:1]                  // offset = (offset < edge) ? offset(v6) : edge(v12)
v_cmp_lt_u32 s[0:1], v7, v12                       // shiftedOffset < shiftedEdge
v_cndmask_b32 v7, v12, v7, s[0:1]                  // offset = (offset < edge) ? offset(v7) : edge(v12)


/* global read addresses: shift b */

s_sub_u32 s0, s[sgprSizeJ], 1                      // edge = Size1J-1
v_mov_b32 v12, s0                                  // edge vgpr = Size1J-1
v_cmp_lt_u32 s[0:1], v8, v12                       // shiftedOffset < shiftedEdge
v_cndmask_b32 v8, v12, v8, s[0:1]                  // offset = (offset < edge) ? offset(v8) : edge(v12)
v_cmp_lt_u32 s[0:1], v9, v12                       // shiftedOffset < shiftedEdge
v_cndmask_b32 v9, v12, v9, s[0:1]                  // offset = (offset < edge) ? offset(v9) : edge(v12)
v_cmp_lt_u32 s[0:1], v10, v12                      // shiftedOffset < shiftedEdge
v_cndmask_b32 v10, v12, v10, s[0:1]                // offset = (offset < edge) ? offset(v10) : edge(v12)
v_cmp_lt_u32 s[0:1], v11, v12                      // shiftedOffset < shiftedEdge
v_cndmask_b32 v11, v12, v11, s[0:1]                // offset = (offset < edge) ? offset(v11) : edge(v12)


/* global read addresses: final offsets a */

GLOBAL_OFFSET_A vgprGlobalReadAddrA+0,  2,  6, sgprWorkGroup2, 12 // gROA_0_0_0_0
GLOBAL_OFFSET_A vgprGlobalReadAddrA+2,  2,  7, sgprWorkGroup2, 12 // gROA_0_0_1_0


/* global read addresses: final offsets b */

GLOBAL_OFFSET_B vgprGlobalReadAddrB+0,  5,  8, sgprWorkGroup2, 12 // gROB_0_0_0_0
GLOBAL_OFFSET_B vgprGlobalReadAddrB+2,  5,  9, sgprWorkGroup2, 12 // gROB_0_0_1_0
GLOBAL_OFFSET_B vgprGlobalReadAddrB+4,  5, 10, sgprWorkGroup2, 12 // gROB_0_0_2_0
GLOBAL_OFFSET_B vgprGlobalReadAddrB+6,  5, 11, sgprWorkGroup2, 12 // gROB_0_0_3_0


/* global read addresses: addresses a */

v_mov_b32 v5, s[sgprAddressA+0]                    // 
v_mov_b32 v6, s[sgprAddressA+1]                    // 
_v_add_co_u32 v[vgprGlobalReadAddrA+0+0], vcc, v[vgprGlobalReadAddrA+0+0], v5 // gRAA_0_0_0_0 = addrA+grOA_0_0_0_0 (lower)
_v_addc_co_u32 v[vgprGlobalReadAddrA+0+1], vcc, v[vgprGlobalReadAddrA+0+1], v6, vcc // gRAA_0_0_0_0 = addrA+grOA_0_0_0_0 (upper)
_v_add_co_u32 v[vgprGlobalReadAddrA+2+0], vcc, v[vgprGlobalReadAddrA+2+0], v5 // gRAA_0_0_1_0 = addrA+grOA_0_0_1_0 (lower)
_v_addc_co_u32 v[vgprGlobalReadAddrA+2+1], vcc, v[vgprGlobalReadAddrA+2+1], v6, vcc // gRAA_0_0_1_0 = addrA+grOA_0_0_1_0 (upper)


/* global read addresses: addresses b */

v_mov_b32 v5, s[sgprAddressB+0]                    // 
v_mov_b32 v6, s[sgprAddressB+1]                    // 
_v_add_co_u32 v[vgprGlobalReadAddrB+0+0], vcc, v[vgprGlobalReadAddrB+0+0], v5 // gRAB_0_0_0_0 = addrB+grOB_0_0_0_0 (lower)
_v_addc_co_u32 v[vgprGlobalReadAddrB+0+1], vcc, v[vgprGlobalReadAddrB+0+1], v6, vcc // gRAB_0_0_0_0 = addrB+grOB_0_0_0_0 (upper)
_v_add_co_u32 v[vgprGlobalReadAddrB+2+0], vcc, v[vgprGlobalReadAddrB+2+0], v5 // gRAB_0_0_1_0 = addrB+grOB_0_0_1_0 (lower)
_v_addc_co_u32 v[vgprGlobalReadAddrB+2+1], vcc, v[vgprGlobalReadAddrB+2+1], v6, vcc // gRAB_0_0_1_0 = addrB+grOB_0_0_1_0 (upper)
_v_add_co_u32 v[vgprGlobalReadAddrB+4+0], vcc, v[vgprGlobalReadAddrB+4+0], v5 // gRAB_0_0_2_0 = addrB+grOB_0_0_2_0 (lower)
_v_addc_co_u32 v[vgprGlobalReadAddrB+4+1], vcc, v[vgprGlobalReadAddrB+4+1], v6, vcc // gRAB_0_0_2_0 = addrB+grOB_0_0_2_0 (upper)
_v_add_co_u32 v[vgprGlobalReadAddrB+6+0], vcc, v[vgprGlobalReadAddrB+6+0], v5 // gRAB_0_0_3_0 = addrB+grOB_0_0_3_0 (lower)
_v_addc_co_u32 v[vgprGlobalReadAddrB+6+1], vcc, v[vgprGlobalReadAddrB+6+1], v6, vcc // gRAB_0_0_3_0 = addrB+grOB_0_0_3_0 (upper)


/* global read addresses: increments a */

s_mul_i32 s0, DepthU*8, constStrideAL              // incrAL = constStrideAL*DepthU*bpe (unrollIdx)
s_mov_b32 s1, 0x0                                  // (carry)
v_mov_b32 v[vgprGlobalReadIncsA+0+0], s0           // 
v_mov_b32 v[vgprGlobalReadIncsA+0+1], s1           // 


/* global read addresses: increments b */

s_mul_i32 s0, DepthU*8, constStrideBL              // incrBL = constStrideBL*DepthU*bpe (unrollIdx)
s_mov_b32 s1, 0x0                                  // (carry)
v_mov_b32 v[vgprGlobalReadIncsB+0+0], s0           // 
v_mov_b32 v[vgprGlobalReadIncsB+0+1], s1           // 


/******************************************/
/* Local Write Addresses                  */
/******************************************/

/* lwaTileAssignmentA = v0 */

/* lwaTileAssignmentB = v3 */

/* lwaUnrollAssignmentA = v1 */

/* lwaUnrollAssignmentB = v4 */


/* local write addresses: first offset a */

v_mul_u32_u24 v[vgprLocalWriteAddrA], 0x42, v1     // lwAL**(MTA + PAD)
_v_add_lshl_u32 v[vgprLocalWriteAddrA], v0, v[vgprLocalWriteAddrA], 0x3 // lwFOA = (lwAA + lwAL*(MT0I+PAD))*bpe


/* local write addresses: first offset b */

v_mul_u32_u24 v[vgprLocalWriteAddrB], 0x82, v4     // lwBL**(MTB + PAD)
_v_add_lshl_u32 v[vgprLocalWriteAddrB], v3, v[vgprLocalWriteAddrB], 0x3 // lwFOB = (lwBB + lwBL*(MT1J+PAD))*bpe
_v_add_co_u32 v[vgprLocalWriteAddrB], vcc, 0x2100, v[vgprLocalWriteAddrB] // lwFOB = lwB1J + lwBL*MT1J + LDS_OFFSET_B=1056*8


	;; [unrolled: 1-line block ×7, first 2 shown]
/* declare loop num iterations */


s_lshr_b32 s[sgprLoopCounterL], s[sgprSizesSum+0], 4 // s[sgprLoopCounterL] = s[sgprSizesSum+0] / 16
s_mov_b32 s[sgprOrigLoopCounter], s[sgprLoopCounterL] // copy loop counter

/* local read addresses: init pointers a */


/* localReadInitPointers */

/* local read addresses: init pointers b */


/* localReadInitPointers */


/* prefetch: global -> local */

s_cmp_eq_u32 s[sgprLoopCounterL], 0                // at last iteration?
s_setprio 0                                        // optimization store
s_cbranch_scc1 ShadowInitStart_10                  // skip to ShadowInitStart iter b/c numIter==0


_global_load_b128 v[vgprG2LA+0:vgprG2LA+0+3], v[vgprGlobalReadAddrA+0:vgprGlobalReadAddrA+0+1], off, offset:0 // G -> Reg 0_0_0_0
_global_load_b128 v[vgprG2LA+4:vgprG2LA+4+3], v[vgprGlobalReadAddrA+2:vgprGlobalReadAddrA+2+1], off, offset:0 // G -> Reg 0_0_1_0


_global_load_b128 v[vgprG2LB+0:vgprG2LB+0+3], v[vgprGlobalReadAddrB+0:vgprGlobalReadAddrB+0+1], off, offset:0 // G -> Reg 0_0_0_0
_global_load_b128 v[vgprG2LB+4:vgprG2LB+4+3], v[vgprGlobalReadAddrB+2:vgprGlobalReadAddrB+2+1], off, offset:0 // G -> Reg 0_0_1_0
_global_load_b128 v[vgprG2LB+8:vgprG2LB+8+3], v[vgprGlobalReadAddrB+4:vgprGlobalReadAddrB+4+1], off, offset:0 // G -> Reg 0_0_2_0
_global_load_b128 v[vgprG2LB+12:vgprG2LB+12+3], v[vgprGlobalReadAddrB+6:vgprGlobalReadAddrB+6+1], off, offset:0 // G -> Reg 0_0_3_0


/* global read inc A loopL */
_v_add_co_u32  v[vgprGlobalReadAddrA+0+0], vcc, v[vgprGlobalReadAddrA+0+0], v[vgprGlobalReadIncsA+0+0] // gra += incAL (lower)
_v_addc_co_u32 v[vgprGlobalReadAddrA+0+1], vcc, v[vgprGlobalReadAddrA+0+1], v[vgprGlobalReadIncsA+0+1], vcc // gra += incAL (upper)
_v_add_co_u32  v[vgprGlobalReadAddrA+2+0], vcc, v[vgprGlobalReadAddrA+2+0], v[vgprGlobalReadIncsA+0+0] // gra += incAL (lower)
_v_addc_co_u32 v[vgprGlobalReadAddrA+2+1], vcc, v[vgprGlobalReadAddrA+2+1], v[vgprGlobalReadIncsA+0+1], vcc // gra += incAL (upper)

/* global read inc B loopL */
_v_add_co_u32  v[vgprGlobalReadAddrB+0+0], vcc, v[vgprGlobalReadAddrB+0+0], v[vgprGlobalReadIncsB+0+0] // gra += incBL (lower)
_v_addc_co_u32 v[vgprGlobalReadAddrB+0+1], vcc, v[vgprGlobalReadAddrB+0+1], v[vgprGlobalReadIncsB+0+1], vcc // gra += incBL (upper)
_v_add_co_u32  v[vgprGlobalReadAddrB+2+0], vcc, v[vgprGlobalReadAddrB+2+0], v[vgprGlobalReadIncsB+0+0] // gra += incBL (lower)
_v_addc_co_u32 v[vgprGlobalReadAddrB+2+1], vcc, v[vgprGlobalReadAddrB+2+1], v[vgprGlobalReadIncsB+0+1], vcc // gra += incBL (upper)
	;; [unrolled: 2-line block ×4, first 2 shown]


/******************************************/
/* End setupNewTile, isPap=False             */
/******************************************/

ShadowInitStart_10: // 


	;; [unrolled: 1-line block ×3, first 2 shown]
/* initC: remove C-tile 0-64 from pool */

/* initC: remove AB-tile 64-112 from pool */
v_mov_b32 v157, 15728640                           // set out-of-bound addr
_ds_load_b64 v[vgprValuC+0:vgprValuC+0+1], v157, offset:0 // initC
_ds_load_b64 v[vgprValuC+2:vgprValuC+2+1], v157, offset:0 // initC
	;; [unrolled: 1-line block ×32, first 2 shown]

s_cmp_eq_u32 s[sgprLoopCounterL], 0                // at last iteration?

/* after InitC, skip to end of prefetch last iter if numIter==0 */
s_cbranch_scc0 label_NoBranch_11                   // Only branch on scc1
s_getpc_B64 s[42:43]                               // addr of next instr
s_add_i32 s44, PrefetchGlobalLastIterEnd_5, 0x4    // target branch offset
s_add_u32 s42, s42, s44                            // add target branch offset
s_addc_u32 s43, s43, 0                             // add high and carry
s_setpc_b64 s[42:43]                               // branch to PrefetchGlobalLastIterEnd_5
label_NoBranch_11:

s_waitcnt vmcnt(0)                                 // lgkmcnt=-1 vmcnt=0 8wait for global read


/* local write a */
_ds_store_b64 v[vgprLocalWriteAddrA], v[vgprG2LA+0:vgprG2LA+0+1] offset:0 // lwoA_0_0_0_0 = (0 + 0*LSCA)*(MT0I+PAD) + (0*LSPA) = 0
_ds_store_b64 v[vgprLocalWriteAddrA], v[vgprG2LA+2:vgprG2LA+2+1] offset:528 // lwoA_0_1_0_0 = (1 + 0*LSCA)*(MT0I+PAD) + (0*LSPA) = 528
_ds_store_b64 v[vgprLocalWriteAddrA], v[vgprG2LA+4:vgprG2LA+4+1] offset:256 // lwoA_0_0_1_0 = (0 + 0*LSCA)*(MT0I+PAD) + (1*LSPA) = 256
_ds_store_b64 v[vgprLocalWriteAddrA], v[vgprG2LA+6:vgprG2LA+6+1] offset:784 // lwoA_0_1_1_0 = (1 + 0*LSCA)*(MT0I+PAD) + (1*LSPA) = 784

/* local write b */
_ds_store_b64 v[vgprLocalWriteAddrB], v[vgprG2LB+0:vgprG2LB+0+1] offset:0 // lwoB_0_0_0_0 = (0 + 0*LSCB)*(MT1J+PAD) + (0*LSPB) = 0
_ds_store_b64 v[vgprLocalWriteAddrB], v[vgprG2LB+2:vgprG2LB+2+1] offset:1040 // lwoB_0_1_0_0 = (1 + 0*LSCB)*(MT1J+PAD) + (0*LSPB) = 1040
_ds_store_b64 v[vgprLocalWriteAddrB], v[vgprG2LB+4:vgprG2LB+4+1] offset:256 // lwoB_0_0_1_0 = (0 + 0*LSCB)*(MT1J+PAD) + (1*LSPB) = 256
_ds_store_b64 v[vgprLocalWriteAddrB], v[vgprG2LB+6:vgprG2LB+6+1] offset:1296 // lwoB_0_1_1_0 = (1 + 0*LSCB)*(MT1J+PAD) + (1*LSPB) = 1296
_ds_store_b64 v[vgprLocalWriteAddrB], v[vgprG2LB+8:vgprG2LB+8+1] offset:512 // lwoB_0_0_2_0 = (0 + 0*LSCB)*(MT1J+PAD) + (2*LSPB) = 512
_ds_store_b64 v[vgprLocalWriteAddrB], v[vgprG2LB+10:vgprG2LB+10+1] offset:1552 // lwoB_0_1_2_0 = (1 + 0*LSCB)*(MT1J+PAD) + (2*LSPB) = 1552
_ds_store_b64 v[vgprLocalWriteAddrB], v[vgprG2LB+12:vgprG2LB+12+1] offset:768 // lwoB_0_0_3_0 = (0 + 0*LSCB)*(MT1J+PAD) + (3*LSPB) = 768
_ds_store_b64 v[vgprLocalWriteAddrB], v[vgprG2LB+14:vgprG2LB+14+1] offset:1808 // lwoB_0_1_3_0 = (1 + 0*LSCB)*(MT1J+PAD) + (3*LSPB) = 1808


/* local write swap a */


	;; [unrolled: 1-line block ×3, first 2 shown]
/* local write swap b */


	;; [unrolled: 1-line block ×4, first 2 shown]
s_cmp_eq_u32 s[sgprLoopCounterL] 0x1               // PGR=2 but only 1 loop
s_cbranch_scc1 label_0012                          // PGR=2 but only 1 loop


_global_load_b128 v[vgprG2LA+0:vgprG2LA+0+3], v[vgprGlobalReadAddrA+0:vgprGlobalReadAddrA+0+1], off, offset:0 // G -> Reg 0_0_0_0
_global_load_b128 v[vgprG2LA+4:vgprG2LA+4+3], v[vgprGlobalReadAddrA+2:vgprGlobalReadAddrA+2+1], off, offset:0 // G -> Reg 0_0_1_0


_global_load_b128 v[vgprG2LB+0:vgprG2LB+0+3], v[vgprGlobalReadAddrB+0:vgprGlobalReadAddrB+0+1], off, offset:0 // G -> Reg 0_0_0_0
_global_load_b128 v[vgprG2LB+4:vgprG2LB+4+3], v[vgprGlobalReadAddrB+2:vgprGlobalReadAddrB+2+1], off, offset:0 // G -> Reg 0_0_1_0
_global_load_b128 v[vgprG2LB+8:vgprG2LB+8+3], v[vgprGlobalReadAddrB+4:vgprGlobalReadAddrB+4+1], off, offset:0 // G -> Reg 0_0_2_0
_global_load_b128 v[vgprG2LB+12:vgprG2LB+12+3], v[vgprGlobalReadAddrB+6:vgprGlobalReadAddrB+6+1], off, offset:0 // G -> Reg 0_0_3_0

label_0012:                                        // 

s_waitcnt lgkmcnt(0)                               // lgkmcnt=0 vmcnt=-10prefetch wait for local write

// Skip force waitcnt0
s_barrier //


/* local read prefetch a */

_ds_load_b64 v[vgprValuA_X0_I0+0:vgprValuA_X0_I0+0+1], v[vgprLocalReadAddrA] offset:0 // L -> Reg lro=0 swapByteOffset=0 ti=32 vIdx=0 rIdx=0 oIdx=0 buffer=0 iui=0
_ds_load_b64 v[vgprValuA_X0_I0+2:vgprValuA_X0_I0+2+1], v[vgprLocalReadAddrA] offset:8 // L -> Reg lro=0 swapByteOffset=0 ti=32 vIdx=0 rIdx=0 oIdx=0 buffer=0 iui=0
	;; [unrolled: 1-line block ×4, first 2 shown]


/* local read prefetch b */

_ds_load_b64 v[vgprValuB_X0_I0+0:vgprValuB_X0_I0+0+1], v[vgprLocalReadAddrB] offset:0 // L -> Reg lro=0 swapByteOffset=0 ti=64 vIdx=0 rIdx=0 oIdx=0 buffer=0 iui=0
_ds_load_b64 v[vgprValuB_X0_I0+2:vgprValuB_X0_I0+2+1], v[vgprLocalReadAddrB] offset:512 // L -> Reg lro=0 swapByteOffset=0 ti=64 vIdx=1 rIdx=0 oIdx=0 buffer=0 iui=0


/* local read inc a */

/* N/A, lro->264 */
/* self.localReadDoCntA 1 self.localReadDoCntB 1 */


/* local read inc b */

/* N/A, lro->520 */
/* self.localReadDoCntA 1 self.localReadDoCntB 1 */


	;; [unrolled: 1-line block ×3, first 2 shown]
/******************************************/
/* Unrolled Loop(s) - Begin               */
/******************************************/

openLoopL_13:
s_cmp_eq_u32 s[sgprLoopCounterL], 0x1              // LoopCounterL < EndCounter
s_cbranch_scc1 label_0014                          // PGR=2 but only 1 loop, toPGR1
s_cmp_le_u32 s[sgprLoopCounterL], 0x2              // LoopCounterL < EndCounter
s_cbranch_scc1 LoopEndL_2                          // do not enter LoopL
LoopBeginL_1:


/******************************************/
/* Unrolled Loop 1/1 - Begin              */
/******************************************/

label_0015: // LoopCopy1 


/* Begin Each Unroll: Check VGPR.checkin for INT8 LW */


	;; [unrolled: 1-line block ×3, first 2 shown]
/* iter 0 */

/*  grEndMfmaIndex:4, lwStartMfmaIndex:13, lwEndMfmaIndex:24  */
/*  numMfmaForLR:5, barrierMfmaIndex:26, LocalWritePerMfma:0.500 */
/*  mfmaIndex:0  */
s_waitcnt lgkmcnt(0)                               // lgkmcnt=0 vmcnt=-1wait for prior local read local write old=0, new=0 newLW=0 newLR=0
v_mfma_f64_16x16x4_f64 v[0+0:7+0], v[vgprValuB_X0_I0+0+0+0:vgprValuB_X0_I0+0+0+0+1], v[vgprValuA_X0_I0+0+0+0:vgprValuA_X0_I0+0+0+0+1], v[0:7]
/*  mfmaIndex:1  */
_ds_load_b64 v[vgprValuA_X1_I0+0:vgprValuA_X1_I0+0+1], v[vgprLocalReadAddrA] offset:2112 // L -> Reg lro=264 swapByteOffset=0 ti=32 vIdx=0 rIdx=0 oIdx=0 buffer=1 iui=0
_ds_load_b64 v[vgprValuB_X1_I0+0:vgprValuB_X1_I0+0+1], v[vgprLocalReadAddrB] offset:4160 // L -> Reg lro=520 swapByteOffset=0 ti=64 vIdx=0 rIdx=0 oIdx=0 buffer=1 iui=0

/* global read inc A loopL */
_v_add_co_u32  v[vgprGlobalReadAddrA+0+0], vcc, v[vgprGlobalReadAddrA+0+0], v[vgprGlobalReadIncsA+0+0] // gra += incAL (lower)
_v_addc_co_u32 v[vgprGlobalReadAddrA+0+1], vcc, v[vgprGlobalReadAddrA+0+1], v[vgprGlobalReadIncsA+0+1], vcc // gra += incAL (upper)
_v_add_co_u32  v[vgprGlobalReadAddrA+2+0], vcc, v[vgprGlobalReadAddrA+2+0], v[vgprGlobalReadIncsA+0+0] // gra += incAL (lower)
v_mfma_f64_16x16x4_f64 v[8+0:15+0], v[vgprValuB_X0_I0+0+0+0:vgprValuB_X0_I0+0+0+0+1], v[vgprValuA_X0_I0+2+0+0:vgprValuA_X0_I0+2+0+0+1], v[8:15]
/*  mfmaIndex:2  */
_ds_load_b64 v[vgprValuA_X1_I0+2:vgprValuA_X1_I0+2+1], v[vgprLocalReadAddrA] offset:2120 // L -> Reg lro=264 swapByteOffset=0 ti=32 vIdx=0 rIdx=0 oIdx=0 buffer=1 iui=0
_ds_load_b64 v[vgprValuA_X1_I0+4:vgprValuA_X1_I0+4+1], v[vgprLocalReadAddrA] offset:2368 // L -> Reg lro=264 swapByteOffset=0 ti=32 vIdx=1 rIdx=0 oIdx=0 buffer=1 iui=0
_v_addc_co_u32 v[vgprGlobalReadAddrA+2+1], vcc, v[vgprGlobalReadAddrA+2+1], v[vgprGlobalReadIncsA+0+1], vcc // gra += incAL (upper)

/* global read inc B loopL */
_v_add_co_u32  v[vgprGlobalReadAddrB+0+0], vcc, v[vgprGlobalReadAddrB+0+0], v[vgprGlobalReadIncsB+0+0] // gra += incBL (lower)
_v_addc_co_u32 v[vgprGlobalReadAddrB+0+1], vcc, v[vgprGlobalReadAddrB+0+1], v[vgprGlobalReadIncsB+0+1], vcc // gra += incBL (upper)
v_mfma_f64_16x16x4_f64 v[16+0:23+0], v[vgprValuB_X0_I0+0+0+0:vgprValuB_X0_I0+0+0+0+1], v[vgprValuA_X0_I0+4+0+0:vgprValuA_X0_I0+4+0+0+1], v[16:23]
/*  mfmaIndex:3  */
_ds_load_b64 v[vgprValuA_X1_I0+6:vgprValuA_X1_I0+6+1], v[vgprLocalReadAddrA] offset:2376 // L -> Reg lro=264 swapByteOffset=0 ti=32 vIdx=1 rIdx=0 oIdx=0 buffer=1 iui=0
_ds_load_b64 v[vgprValuB_X1_I0+2:vgprValuB_X1_I0+2+1], v[vgprLocalReadAddrB] offset:4672 // L -> Reg lro=520 swapByteOffset=0 ti=64 vIdx=1 rIdx=0 oIdx=0 buffer=1 iui=0
/* localReadsVacancy: latencyLeft 1 */
_v_add_co_u32  v[vgprGlobalReadAddrB+2+0], vcc, v[vgprGlobalReadAddrB+2+0], v[vgprGlobalReadIncsB+0+0] // gra += incBL (lower)
_v_addc_co_u32 v[vgprGlobalReadAddrB+2+1], vcc, v[vgprGlobalReadAddrB+2+1], v[vgprGlobalReadIncsB+0+1], vcc // gra += incBL (upper)
_v_add_co_u32  v[vgprGlobalReadAddrB+4+0], vcc, v[vgprGlobalReadAddrB+4+0], v[vgprGlobalReadIncsB+0+0] // gra += incBL (lower)
v_mfma_f64_16x16x4_f64 v[24+0:31+0], v[vgprValuB_X0_I0+0+0+0:vgprValuB_X0_I0+0+0+0+1], v[vgprValuA_X0_I0+6+0+0:vgprValuA_X0_I0+6+0+0+1], v[24:31]
/*  mfmaIndex:4  */
/* localReadsVacancy: latencyLeft 5 */
_ds_load_b64 v[vgprValuA_X2_I0+0:vgprValuA_X2_I0+0+1], v[vgprLocalReadAddrA] offset:4224 // L -> Reg lro=528 swapByteOffset=0 ti=32 vIdx=0 rIdx=0 oIdx=0 buffer=2 iui=0
_ds_load_b64 v[vgprValuB_X2_I0+0:vgprValuB_X2_I0+0+1], v[vgprLocalReadAddrB] offset:8320 // L -> Reg lro=1040 swapByteOffset=0 ti=64 vIdx=0 rIdx=0 oIdx=0 buffer=2 iui=0
_v_addc_co_u32 v[vgprGlobalReadAddrB+4+1], vcc, v[vgprGlobalReadAddrB+4+1], v[vgprGlobalReadIncsB+0+1], vcc // gra += incBL (upper)
_v_add_co_u32  v[vgprGlobalReadAddrB+6+0], vcc, v[vgprGlobalReadAddrB+6+0], v[vgprGlobalReadIncsB+0+0] // gra += incBL (lower)
_v_addc_co_u32 v[vgprGlobalReadAddrB+6+1], vcc, v[vgprGlobalReadAddrB+6+1], v[vgprGlobalReadIncsB+0+1], vcc // gra += incBL (upper)
v_mfma_f64_16x16x4_f64 v[56+0:63+0], v[vgprValuB_X0_I0+2+0+0:vgprValuB_X0_I0+2+0+0+1], v[vgprValuA_X0_I0+6+0+0:vgprValuA_X0_I0+6+0+0+1], v[56:63]
/*  mfmaIndex:5  */
/* localReadsVacancy: latencyLeft 5 */
_ds_load_b64 v[vgprValuA_X2_I0+2:vgprValuA_X2_I0+2+1], v[vgprLocalReadAddrA] offset:4232 // L -> Reg lro=528 swapByteOffset=0 ti=32 vIdx=0 rIdx=0 oIdx=0 buffer=2 iui=0
_ds_load_b64 v[vgprValuA_X2_I0+4:vgprValuA_X2_I0+4+1], v[vgprLocalReadAddrA] offset:4480 // L -> Reg lro=528 swapByteOffset=0 ti=32 vIdx=1 rIdx=0 oIdx=0 buffer=2 iui=0
v_mfma_f64_16x16x4_f64 v[48+0:55+0], v[vgprValuB_X0_I0+2+0+0:vgprValuB_X0_I0+2+0+0+1], v[vgprValuA_X0_I0+4+0+0:vgprValuA_X0_I0+4+0+0+1], v[48:55]
/*  mfmaIndex:6  */
/* localReadsVacancy: latencyLeft 5 */
_ds_load_b64 v[vgprValuA_X2_I0+6:vgprValuA_X2_I0+6+1], v[vgprLocalReadAddrA] offset:4488 // L -> Reg lro=528 swapByteOffset=0 ti=32 vIdx=1 rIdx=0 oIdx=0 buffer=2 iui=0
_ds_load_b64 v[vgprValuB_X2_I0+2:vgprValuB_X2_I0+2+1], v[vgprLocalReadAddrB] offset:8832 // L -> Reg lro=1040 swapByteOffset=0 ti=64 vIdx=1 rIdx=0 oIdx=0 buffer=2 iui=0
v_mfma_f64_16x16x4_f64 v[40+0:47+0], v[vgprValuB_X0_I0+2+0+0:vgprValuB_X0_I0+2+0+0+1], v[vgprValuA_X0_I0+2+0+0:vgprValuA_X0_I0+2+0+0+1], v[40:47]
/*  mfmaIndex:7  */
/* localReadsVacancy: latencyLeft 5 */
_ds_load_b64 v[vgprValuA_X3_I0+0:vgprValuA_X3_I0+0+1], v[vgprLocalReadAddrA] offset:6336 // L -> Reg lro=792 swapByteOffset=0 ti=32 vIdx=0 rIdx=0 oIdx=0 buffer=3 iui=0
_ds_load_b64 v[vgprValuB_X3_I0+0:vgprValuB_X3_I0+0+1], v[vgprLocalReadAddrB] offset:12480 // L -> Reg lro=1560 swapByteOffset=0 ti=64 vIdx=0 rIdx=0 oIdx=0 buffer=3 iui=0
v_mfma_f64_16x16x4_f64 v[32+0:39+0], v[vgprValuB_X0_I0+2+0+0:vgprValuB_X0_I0+2+0+0+1], v[vgprValuA_X0_I0+0+0+0:vgprValuA_X0_I0+0+0+0+1], v[32:39]
/* numPrefetchIter=0 */
/* dataAtIterA=-1 numReadsIterA=1 skipReadsIterA=1 readsPerIterA=4 */
/* dataAtIterB=-1 numReadsIterB=1 skipReadsIterB=1 readsPerIterB=2 */


/* iter 1 */

/*  grEndMfmaIndex:4, lwStartMfmaIndex:13, lwEndMfmaIndex:24  */
/*  numMfmaForLR:5, barrierMfmaIndex:26, LocalWritePerMfma:0.500 */
/*  mfmaIndex:8  */
/* localReadsVacancy: latencyLeft 5 */
_ds_load_b64 v[vgprValuA_X3_I0+2:vgprValuA_X3_I0+2+1], v[vgprLocalReadAddrA] offset:6344 // L -> Reg lro=792 swapByteOffset=0 ti=32 vIdx=0 rIdx=0 oIdx=0 buffer=3 iui=0
_ds_load_b64 v[vgprValuA_X3_I0+4:vgprValuA_X3_I0+4+1], v[vgprLocalReadAddrA] offset:6592 // L -> Reg lro=792 swapByteOffset=0 ti=32 vIdx=1 rIdx=0 oIdx=0 buffer=3 iui=0
s_waitcnt lgkmcnt(10)                              // lgkmcnt=0 vmcnt=-1wait for prior local read local write old=6, new=6 newLW=0 newLR=0
v_mfma_f64_16x16x4_f64 v[0+0:7+0], v[vgprValuB_X1_I0+0+0+0:vgprValuB_X1_I0+0+0+0+1], v[vgprValuA_X1_I0+0+0+0:vgprValuA_X1_I0+0+0+0+1], v[0:7]
/*  mfmaIndex:9  */
/* localReadsVacancy: latencyLeft 5 */
_ds_load_b64 v[vgprValuA_X3_I0+6:vgprValuA_X3_I0+6+1], v[vgprLocalReadAddrA] offset:6600 // L -> Reg lro=792 swapByteOffset=0 ti=32 vIdx=1 rIdx=0 oIdx=0 buffer=3 iui=0
_ds_load_b64 v[vgprValuB_X3_I0+2:vgprValuB_X3_I0+2+1], v[vgprLocalReadAddrB] offset:12992 // L -> Reg lro=1560 swapByteOffset=0 ti=64 vIdx=1 rIdx=0 oIdx=0 buffer=3 iui=0
v_mfma_f64_16x16x4_f64 v[8+0:15+0], v[vgprValuB_X1_I0+0+0+0:vgprValuB_X1_I0+0+0+0+1], v[vgprValuA_X1_I0+2+0+0:vgprValuA_X1_I0+2+0+0+1], v[8:15]
/*  mfmaIndex:10  */
/* localReadsVacancy: latencyLeft 5 */
v_mfma_f64_16x16x4_f64 v[16+0:23+0], v[vgprValuB_X1_I0+0+0+0:vgprValuB_X1_I0+0+0+0+1], v[vgprValuA_X1_I0+4+0+0:vgprValuA_X1_I0+4+0+0+1], v[16:23]
/*  mfmaIndex:11  */
/* localReadsVacancy: latencyLeft 5 */
	;; [unrolled: 3-line block ×3, first 2 shown]
/* 1 LDS buffer: read-sync-write */
s_waitcnt lgkmcnt(0)                               // 
s_barrier                                          // 
v_mfma_f64_16x16x4_f64 v[56+0:63+0], v[vgprValuB_X1_I0+2+0+0:vgprValuB_X1_I0+2+0+0+1], v[vgprValuA_X1_I0+6+0+0:vgprValuA_X1_I0+6+0+0+1], v[56:63]
/*  mfmaIndex:13  */
s_setprio 3                                        // store optimization
/* sched write - iter 1 writesPerItem=2 */
s_waitcnt vmcnt(0)                                 // lgkmcnt=-1 vmcnt=0wait for global read before writing to local
_ds_store_b64 v[vgprLocalWriteAddrA], v[vgprG2LA+0:vgprG2LA+0+1] offset:0 // lwoA_0_0_0_0 = (0 + 0*LSCA)*(MT0I+PAD) + (0*LSPA) = 0
_ds_store_b64 v[vgprLocalWriteAddrA], v[vgprG2LA+2:vgprG2LA+2+1] offset:528 // lwoA_0_1_0_0 = (1 + 0*LSCA)*(MT0I+PAD) + (0*LSPA) = 528
v_mfma_f64_16x16x4_f64 v[48+0:55+0], v[vgprValuB_X1_I0+2+0+0:vgprValuB_X1_I0+2+0+0+1], v[vgprValuA_X1_I0+4+0+0:vgprValuA_X1_I0+4+0+0+1], v[48:55]
/*  mfmaIndex:14  */
_global_load_b128 v[vgprG2LA+0:vgprG2LA+0+3], v[vgprGlobalReadAddrA+0:vgprGlobalReadAddrA+0+1], off, offset:0 // G -> Reg 0_0_0_0
v_mfma_f64_16x16x4_f64 v[40+0:47+0], v[vgprValuB_X1_I0+2+0+0:vgprValuB_X1_I0+2+0+0+1], v[vgprValuA_X1_I0+2+0+0:vgprValuA_X1_I0+2+0+0+1], v[40:47]
/*  mfmaIndex:15  */
/* sched write - iter 1 writesPerItem=2 */
s_waitcnt vmcnt(0)                                 // lgkmcnt=-1 vmcnt=0wait for global read before writing to local
_ds_store_b64 v[vgprLocalWriteAddrA], v[vgprG2LA+4:vgprG2LA+4+1] offset:256 // lwoA_0_0_1_0 = (0 + 0*LSCA)*(MT0I+PAD) + (1*LSPA) = 256
_ds_store_b64 v[vgprLocalWriteAddrA], v[vgprG2LA+6:vgprG2LA+6+1] offset:784 // lwoA_0_1_1_0 = (1 + 0*LSCA)*(MT0I+PAD) + (1*LSPA) = 784
v_mfma_f64_16x16x4_f64 v[32+0:39+0], v[vgprValuB_X1_I0+2+0+0:vgprValuB_X1_I0+2+0+0+1], v[vgprValuA_X1_I0+0+0+0:vgprValuA_X1_I0+0+0+0+1], v[32:39]
/* numPrefetchIter=0 */
/* dataAtIterA=0 numReadsIterA=2 skipReadsIterA=1 readsPerIterA=4 */
/* dataAtIterB=0 numReadsIterB=2 skipReadsIterB=1 readsPerIterB=2 */


/* iter 2 (reset local read pointers iteration)  (swap local read pointers iteration)  */

/*  grEndMfmaIndex:4, lwStartMfmaIndex:13, lwEndMfmaIndex:24  */
/*  numMfmaForLR:5, barrierMfmaIndex:26, LocalWritePerMfma:0.500 */
/*  mfmaIndex:16  */
_global_load_b128 v[vgprG2LA+4:vgprG2LA+4+3], v[vgprGlobalReadAddrA+2:vgprGlobalReadAddrA+2+1], off, offset:0 // G -> Reg 0_0_1_0
v_mfma_f64_16x16x4_f64 v[0+0:7+0], v[vgprValuB_X2_I0+0+0+0:vgprValuB_X2_I0+0+0+0+1], v[vgprValuA_X2_I0+0+0+0:vgprValuA_X2_I0+0+0+0+1], v[0:7]
/*  mfmaIndex:17  */
/* sched write - iter 2 writesPerItem=2 */
s_waitcnt vmcnt(0)                                 // lgkmcnt=-1 vmcnt=0wait for global read before writing to local
_ds_store_b64 v[vgprLocalWriteAddrB], v[vgprG2LB+0:vgprG2LB+0+1] offset:0 // lwoB_0_0_0_0 = (0 + 0*LSCB)*(MT1J+PAD) + (0*LSPB) = 0
_ds_store_b64 v[vgprLocalWriteAddrB], v[vgprG2LB+2:vgprG2LB+2+1] offset:1040 // lwoB_0_1_0_0 = (1 + 0*LSCB)*(MT1J+PAD) + (0*LSPB) = 1040
v_mfma_f64_16x16x4_f64 v[8+0:15+0], v[vgprValuB_X2_I0+0+0+0:vgprValuB_X2_I0+0+0+0+1], v[vgprValuA_X2_I0+2+0+0:vgprValuA_X2_I0+2+0+0+1], v[8:15]
/*  mfmaIndex:18  */
_global_load_b128 v[vgprG2LB+0:vgprG2LB+0+3], v[vgprGlobalReadAddrB+0:vgprGlobalReadAddrB+0+1], off, offset:0 // G -> Reg 0_0_0_0
v_mfma_f64_16x16x4_f64 v[16+0:23+0], v[vgprValuB_X2_I0+0+0+0:vgprValuB_X2_I0+0+0+0+1], v[vgprValuA_X2_I0+4+0+0:vgprValuA_X2_I0+4+0+0+1], v[16:23]
/*  mfmaIndex:19  */
/* sched write - iter 2 writesPerItem=2 */
s_waitcnt vmcnt(0)                                 // lgkmcnt=-1 vmcnt=0wait for global read before writing to local
_ds_store_b64 v[vgprLocalWriteAddrB], v[vgprG2LB+4:vgprG2LB+4+1] offset:256 // lwoB_0_0_1_0 = (0 + 0*LSCB)*(MT1J+PAD) + (1*LSPB) = 256
_ds_store_b64 v[vgprLocalWriteAddrB], v[vgprG2LB+6:vgprG2LB+6+1] offset:1296 // lwoB_0_1_1_0 = (1 + 0*LSCB)*(MT1J+PAD) + (1*LSPB) = 1296
v_mfma_f64_16x16x4_f64 v[24+0:31+0], v[vgprValuB_X2_I0+0+0+0:vgprValuB_X2_I0+0+0+0+1], v[vgprValuA_X2_I0+6+0+0:vgprValuA_X2_I0+6+0+0+1], v[24:31]
/*  mfmaIndex:20  */
_global_load_b128 v[vgprG2LB+4:vgprG2LB+4+3], v[vgprGlobalReadAddrB+2:vgprGlobalReadAddrB+2+1], off, offset:0 // G -> Reg 0_0_1_0
v_mfma_f64_16x16x4_f64 v[56+0:63+0], v[vgprValuB_X2_I0+2+0+0:vgprValuB_X2_I0+2+0+0+1], v[vgprValuA_X2_I0+6+0+0:vgprValuA_X2_I0+6+0+0+1], v[56:63]
/*  mfmaIndex:21  */
/* sched write - iter 2 writesPerItem=2 */
s_waitcnt vmcnt(0)                                 // lgkmcnt=-1 vmcnt=0wait for global read before writing to local
_ds_store_b64 v[vgprLocalWriteAddrB], v[vgprG2LB+8:vgprG2LB+8+1] offset:512 // lwoB_0_0_2_0 = (0 + 0*LSCB)*(MT1J+PAD) + (2*LSPB) = 512
_ds_store_b64 v[vgprLocalWriteAddrB], v[vgprG2LB+10:vgprG2LB+10+1] offset:1552 // lwoB_0_1_2_0 = (1 + 0*LSCB)*(MT1J+PAD) + (2*LSPB) = 1552
v_mfma_f64_16x16x4_f64 v[48+0:55+0], v[vgprValuB_X2_I0+2+0+0:vgprValuB_X2_I0+2+0+0+1], v[vgprValuA_X2_I0+4+0+0:vgprValuA_X2_I0+4+0+0+1], v[48:55]
/*  mfmaIndex:22  */
_global_load_b128 v[vgprG2LB+8:vgprG2LB+8+3], v[vgprGlobalReadAddrB+4:vgprGlobalReadAddrB+4+1], off, offset:0 // G -> Reg 0_0_2_0
v_mfma_f64_16x16x4_f64 v[40+0:47+0], v[vgprValuB_X2_I0+2+0+0:vgprValuB_X2_I0+2+0+0+1], v[vgprValuA_X2_I0+2+0+0:vgprValuA_X2_I0+2+0+0+1], v[40:47]
/*  mfmaIndex:23  */
/* sched write - iter 2 writesPerItem=2 */
s_waitcnt vmcnt(0)                                 // lgkmcnt=-1 vmcnt=0wait for global read before writing to local
_ds_store_b64 v[vgprLocalWriteAddrB], v[vgprG2LB+12:vgprG2LB+12+1] offset:768 // lwoB_0_0_3_0 = (0 + 0*LSCB)*(MT1J+PAD) + (3*LSPB) = 768
_ds_store_b64 v[vgprLocalWriteAddrB], v[vgprG2LB+14:vgprG2LB+14+1] offset:1808 // lwoB_0_1_3_0 = (1 + 0*LSCB)*(MT1J+PAD) + (3*LSPB) = 1808

/* local read swap offsets a */

/* local read swap offsets b */

/* local read init pointers a */

/* localReadInitPointers */

/* local read init pointers b */

/* localReadInitPointers */
v_mfma_f64_16x16x4_f64 v[32+0:39+0], v[vgprValuB_X2_I0+2+0+0:vgprValuB_X2_I0+2+0+0+1], v[vgprValuA_X2_I0+0+0+0:vgprValuA_X2_I0+0+0+0+1], v[32:39]


/* iter 3 (swap and reset local write pointers iteration)  */

/*  grEndMfmaIndex:4, lwStartMfmaIndex:13, lwEndMfmaIndex:24  */
/*  numMfmaForLR:5, barrierMfmaIndex:26, LocalWritePerMfma:0.500 */
/*  mfmaIndex:24  */
_global_load_b128 v[vgprG2LB+12:vgprG2LB+12+3], v[vgprGlobalReadAddrB+6:vgprGlobalReadAddrB+6+1], off, offset:0 // G -> Reg 0_0_3_0

/* local write swap offsets a */

/* local write swap offsets b */
v_mfma_f64_16x16x4_f64 v[0+0:7+0], v[vgprValuB_X3_I0+0+0+0:vgprValuB_X3_I0+0+0+0+1], v[vgprValuA_X3_I0+0+0+0:vgprValuA_X3_I0+0+0+0+1], v[0:7]
/*  mfmaIndex:25  */
v_mfma_f64_16x16x4_f64 v[8+0:15+0], v[vgprValuB_X3_I0+0+0+0:vgprValuB_X3_I0+0+0+0+1], v[vgprValuA_X3_I0+2+0+0:vgprValuA_X3_I0+2+0+0+1], v[8:15]
s_setprio 0                                        // store optimization
/*  mfmaIndex:26  */
s_waitcnt lgkmcnt(0)                               // lgkmcnt=0 vmcnt=-13wait for local write
// Skip force waitcnt0
s_barrier //
v_mfma_f64_16x16x4_f64 v[16+0:23+0], v[vgprValuB_X3_I0+0+0+0:vgprValuB_X3_I0+0+0+0+1], v[vgprValuA_X3_I0+4+0+0:vgprValuA_X3_I0+4+0+0+1], v[16:23]
/*  mfmaIndex:27  */
s_setprio 3                                        // store optimization
_ds_load_b64 v[vgprValuA_X0_I0+0:vgprValuA_X0_I0+0+1], v[vgprLocalReadAddrA] offset:0 // L -> Reg lro=0 swapByteOffset=0 ti=32 vIdx=0 rIdx=0 oIdx=0 buffer=0 iui=0
_ds_load_b64 v[vgprValuB_X0_I0+0:vgprValuB_X0_I0+0+1], v[vgprLocalReadAddrB] offset:0 // L -> Reg lro=0 swapByteOffset=0 ti=64 vIdx=0 rIdx=0 oIdx=0 buffer=0 iui=0
v_mfma_f64_16x16x4_f64 v[24+0:31+0], v[vgprValuB_X3_I0+0+0+0:vgprValuB_X3_I0+0+0+0+1], v[vgprValuA_X3_I0+6+0+0:vgprValuA_X3_I0+6+0+0+1], v[24:31]
/*  mfmaIndex:28  */
_ds_load_b64 v[vgprValuA_X0_I0+2:vgprValuA_X0_I0+2+1], v[vgprLocalReadAddrA] offset:8 // L -> Reg lro=0 swapByteOffset=0 ti=32 vIdx=0 rIdx=0 oIdx=0 buffer=0 iui=0
_ds_load_b64 v[vgprValuA_X0_I0+4:vgprValuA_X0_I0+4+1], v[vgprLocalReadAddrA] offset:256 // L -> Reg lro=0 swapByteOffset=0 ti=32 vIdx=1 rIdx=0 oIdx=0 buffer=0 iui=0
v_mfma_f64_16x16x4_f64 v[56+0:63+0], v[vgprValuB_X3_I0+2+0+0:vgprValuB_X3_I0+2+0+0+1], v[vgprValuA_X3_I0+6+0+0:vgprValuA_X3_I0+6+0+0+1], v[56:63]
/*  mfmaIndex:29  */
_ds_load_b64 v[vgprValuA_X0_I0+6:vgprValuA_X0_I0+6+1], v[vgprLocalReadAddrA] offset:264 // L -> Reg lro=0 swapByteOffset=0 ti=32 vIdx=1 rIdx=0 oIdx=0 buffer=0 iui=0
_ds_load_b64 v[vgprValuB_X0_I0+2:vgprValuB_X0_I0+2+1], v[vgprLocalReadAddrB] offset:512 // L -> Reg lro=0 swapByteOffset=0 ti=64 vIdx=1 rIdx=0 oIdx=0 buffer=0 iui=0
v_mfma_f64_16x16x4_f64 v[48+0:55+0], v[vgprValuB_X3_I0+2+0+0:vgprValuB_X3_I0+2+0+0+1], v[vgprValuA_X3_I0+4+0+0:vgprValuA_X3_I0+4+0+0+1], v[48:55]
/*  mfmaIndex:30  */
v_mfma_f64_16x16x4_f64 v[40+0:47+0], v[vgprValuB_X3_I0+2+0+0:vgprValuB_X3_I0+2+0+0+1], v[vgprValuA_X3_I0+2+0+0:vgprValuA_X3_I0+2+0+0+1], v[40:47]
/*  mfmaIndex:31  */
v_mfma_f64_16x16x4_f64 v[32+0:39+0], v[vgprValuB_X3_I0+2+0+0:vgprValuB_X3_I0+2+0+0+1], v[vgprValuA_X3_I0+0+0+0:vgprValuA_X3_I0+0+0+0+1], v[32:39]
s_setprio 0                                        // store optimization


/******************************************/
/* Unrolled Loop - End                    */
/******************************************/


/* closeLoop loopL finalLoop=1 tailLoop=0 */
s_sub_u32 s[sgprLoopCounterL], s[sgprLoopCounterL], 1 // dec counterL
s_cmp_eq_i32 s[sgprLoopCounterL], 0x2              // counterL==2
s_cbranch_scc0 LoopBeginL_1                        // restart LoopL
LoopEndL_2:


/* Before NLL: Check VGPR.checkin for INT8 LW */


/******************************************/
/* Ord. NoGlobalLoadLoop - Begin                                      */
/******************************************/


	;; [unrolled: 1-line block ×3, first 2 shown]
/* iter 0 */

/*  grEndMfmaIndex:4, lwStartMfmaIndex:13, lwEndMfmaIndex:24  */
/*  numMfmaForLR:5, barrierMfmaIndex:26, LocalWritePerMfma:0.500 */
/*  mfmaIndex:0  */
s_waitcnt lgkmcnt(0)                               // lgkmcnt=0 vmcnt=-1wait for prior local read local write old=0, new=0 newLW=0 newLR=0
v_mfma_f64_16x16x4_f64 v[0+0:7+0], v[vgprValuB_X0_I0+0+0+0:vgprValuB_X0_I0+0+0+0+1], v[vgprValuA_X0_I0+0+0+0:vgprValuA_X0_I0+0+0+0+1], v[0:7]
/*  mfmaIndex:1  */
_ds_load_b64 v[vgprValuA_X1_I0+0:vgprValuA_X1_I0+0+1], v[vgprLocalReadAddrA] offset:2112 // L -> Reg lro=264 swapByteOffset=0 ti=32 vIdx=0 rIdx=0 oIdx=0 buffer=1 iui=0
_ds_load_b64 v[vgprValuB_X1_I0+0:vgprValuB_X1_I0+0+1], v[vgprLocalReadAddrB] offset:4160 // L -> Reg lro=520 swapByteOffset=0 ti=64 vIdx=0 rIdx=0 oIdx=0 buffer=1 iui=0

/* global read inc A loopL */
_v_add_co_u32  v[vgprGlobalReadAddrA+0+0], vcc, v[vgprGlobalReadAddrA+0+0], v[vgprGlobalReadIncsA+0+0] // gra += incAL (lower)
_v_addc_co_u32 v[vgprGlobalReadAddrA+0+1], vcc, v[vgprGlobalReadAddrA+0+1], v[vgprGlobalReadIncsA+0+1], vcc // gra += incAL (upper)
_v_add_co_u32  v[vgprGlobalReadAddrA+2+0], vcc, v[vgprGlobalReadAddrA+2+0], v[vgprGlobalReadIncsA+0+0] // gra += incAL (lower)
v_mfma_f64_16x16x4_f64 v[8+0:15+0], v[vgprValuB_X0_I0+0+0+0:vgprValuB_X0_I0+0+0+0+1], v[vgprValuA_X0_I0+2+0+0:vgprValuA_X0_I0+2+0+0+1], v[8:15]
/*  mfmaIndex:2  */
_ds_load_b64 v[vgprValuA_X1_I0+2:vgprValuA_X1_I0+2+1], v[vgprLocalReadAddrA] offset:2120 // L -> Reg lro=264 swapByteOffset=0 ti=32 vIdx=0 rIdx=0 oIdx=0 buffer=1 iui=0
_ds_load_b64 v[vgprValuA_X1_I0+4:vgprValuA_X1_I0+4+1], v[vgprLocalReadAddrA] offset:2368 // L -> Reg lro=264 swapByteOffset=0 ti=32 vIdx=1 rIdx=0 oIdx=0 buffer=1 iui=0
_v_addc_co_u32 v[vgprGlobalReadAddrA+2+1], vcc, v[vgprGlobalReadAddrA+2+1], v[vgprGlobalReadIncsA+0+1], vcc // gra += incAL (upper)

/* global read inc B loopL */
_v_add_co_u32  v[vgprGlobalReadAddrB+0+0], vcc, v[vgprGlobalReadAddrB+0+0], v[vgprGlobalReadIncsB+0+0] // gra += incBL (lower)
_v_addc_co_u32 v[vgprGlobalReadAddrB+0+1], vcc, v[vgprGlobalReadAddrB+0+1], v[vgprGlobalReadIncsB+0+1], vcc // gra += incBL (upper)
v_mfma_f64_16x16x4_f64 v[16+0:23+0], v[vgprValuB_X0_I0+0+0+0:vgprValuB_X0_I0+0+0+0+1], v[vgprValuA_X0_I0+4+0+0:vgprValuA_X0_I0+4+0+0+1], v[16:23]
/*  mfmaIndex:3  */
_ds_load_b64 v[vgprValuA_X1_I0+6:vgprValuA_X1_I0+6+1], v[vgprLocalReadAddrA] offset:2376 // L -> Reg lro=264 swapByteOffset=0 ti=32 vIdx=1 rIdx=0 oIdx=0 buffer=1 iui=0
_ds_load_b64 v[vgprValuB_X1_I0+2:vgprValuB_X1_I0+2+1], v[vgprLocalReadAddrB] offset:4672 // L -> Reg lro=520 swapByteOffset=0 ti=64 vIdx=1 rIdx=0 oIdx=0 buffer=1 iui=0
/* localReadsVacancy: latencyLeft 1 */
_v_add_co_u32  v[vgprGlobalReadAddrB+2+0], vcc, v[vgprGlobalReadAddrB+2+0], v[vgprGlobalReadIncsB+0+0] // gra += incBL (lower)
_v_addc_co_u32 v[vgprGlobalReadAddrB+2+1], vcc, v[vgprGlobalReadAddrB+2+1], v[vgprGlobalReadIncsB+0+1], vcc // gra += incBL (upper)
_v_add_co_u32  v[vgprGlobalReadAddrB+4+0], vcc, v[vgprGlobalReadAddrB+4+0], v[vgprGlobalReadIncsB+0+0] // gra += incBL (lower)
v_mfma_f64_16x16x4_f64 v[24+0:31+0], v[vgprValuB_X0_I0+0+0+0:vgprValuB_X0_I0+0+0+0+1], v[vgprValuA_X0_I0+6+0+0:vgprValuA_X0_I0+6+0+0+1], v[24:31]
/*  mfmaIndex:4  */
/* localReadsVacancy: latencyLeft 5 */
_ds_load_b64 v[vgprValuA_X2_I0+0:vgprValuA_X2_I0+0+1], v[vgprLocalReadAddrA] offset:4224 // L -> Reg lro=528 swapByteOffset=0 ti=32 vIdx=0 rIdx=0 oIdx=0 buffer=2 iui=0
_ds_load_b64 v[vgprValuB_X2_I0+0:vgprValuB_X2_I0+0+1], v[vgprLocalReadAddrB] offset:8320 // L -> Reg lro=1040 swapByteOffset=0 ti=64 vIdx=0 rIdx=0 oIdx=0 buffer=2 iui=0
_v_addc_co_u32 v[vgprGlobalReadAddrB+4+1], vcc, v[vgprGlobalReadAddrB+4+1], v[vgprGlobalReadIncsB+0+1], vcc // gra += incBL (upper)
_v_add_co_u32  v[vgprGlobalReadAddrB+6+0], vcc, v[vgprGlobalReadAddrB+6+0], v[vgprGlobalReadIncsB+0+0] // gra += incBL (lower)
_v_addc_co_u32 v[vgprGlobalReadAddrB+6+1], vcc, v[vgprGlobalReadAddrB+6+1], v[vgprGlobalReadIncsB+0+1], vcc // gra += incBL (upper)
v_mfma_f64_16x16x4_f64 v[56+0:63+0], v[vgprValuB_X0_I0+2+0+0:vgprValuB_X0_I0+2+0+0+1], v[vgprValuA_X0_I0+6+0+0:vgprValuA_X0_I0+6+0+0+1], v[56:63]
/*  mfmaIndex:5  */
/* localReadsVacancy: latencyLeft 5 */
_ds_load_b64 v[vgprValuA_X2_I0+2:vgprValuA_X2_I0+2+1], v[vgprLocalReadAddrA] offset:4232 // L -> Reg lro=528 swapByteOffset=0 ti=32 vIdx=0 rIdx=0 oIdx=0 buffer=2 iui=0
_ds_load_b64 v[vgprValuA_X2_I0+4:vgprValuA_X2_I0+4+1], v[vgprLocalReadAddrA] offset:4480 // L -> Reg lro=528 swapByteOffset=0 ti=32 vIdx=1 rIdx=0 oIdx=0 buffer=2 iui=0
v_mfma_f64_16x16x4_f64 v[48+0:55+0], v[vgprValuB_X0_I0+2+0+0:vgprValuB_X0_I0+2+0+0+1], v[vgprValuA_X0_I0+4+0+0:vgprValuA_X0_I0+4+0+0+1], v[48:55]
/*  mfmaIndex:6  */
/* localReadsVacancy: latencyLeft 5 */
_ds_load_b64 v[vgprValuA_X2_I0+6:vgprValuA_X2_I0+6+1], v[vgprLocalReadAddrA] offset:4488 // L -> Reg lro=528 swapByteOffset=0 ti=32 vIdx=1 rIdx=0 oIdx=0 buffer=2 iui=0
_ds_load_b64 v[vgprValuB_X2_I0+2:vgprValuB_X2_I0+2+1], v[vgprLocalReadAddrB] offset:8832 // L -> Reg lro=1040 swapByteOffset=0 ti=64 vIdx=1 rIdx=0 oIdx=0 buffer=2 iui=0
v_mfma_f64_16x16x4_f64 v[40+0:47+0], v[vgprValuB_X0_I0+2+0+0:vgprValuB_X0_I0+2+0+0+1], v[vgprValuA_X0_I0+2+0+0:vgprValuA_X0_I0+2+0+0+1], v[40:47]
/*  mfmaIndex:7  */
/* localReadsVacancy: latencyLeft 5 */
_ds_load_b64 v[vgprValuA_X3_I0+0:vgprValuA_X3_I0+0+1], v[vgprLocalReadAddrA] offset:6336 // L -> Reg lro=792 swapByteOffset=0 ti=32 vIdx=0 rIdx=0 oIdx=0 buffer=3 iui=0
_ds_load_b64 v[vgprValuB_X3_I0+0:vgprValuB_X3_I0+0+1], v[vgprLocalReadAddrB] offset:12480 // L -> Reg lro=1560 swapByteOffset=0 ti=64 vIdx=0 rIdx=0 oIdx=0 buffer=3 iui=0
v_mfma_f64_16x16x4_f64 v[32+0:39+0], v[vgprValuB_X0_I0+2+0+0:vgprValuB_X0_I0+2+0+0+1], v[vgprValuA_X0_I0+0+0+0:vgprValuA_X0_I0+0+0+0+1], v[32:39]
/* numPrefetchIter=0 */
/* dataAtIterA=-1 numReadsIterA=1 skipReadsIterA=1 readsPerIterA=4 */
/* dataAtIterB=-1 numReadsIterB=1 skipReadsIterB=1 readsPerIterB=2 */


/* iter 1 */

/*  grEndMfmaIndex:4, lwStartMfmaIndex:13, lwEndMfmaIndex:24  */
/*  numMfmaForLR:5, barrierMfmaIndex:26, LocalWritePerMfma:0.500 */
/*  mfmaIndex:8  */
/* localReadsVacancy: latencyLeft 5 */
_ds_load_b64 v[vgprValuA_X3_I0+2:vgprValuA_X3_I0+2+1], v[vgprLocalReadAddrA] offset:6344 // L -> Reg lro=792 swapByteOffset=0 ti=32 vIdx=0 rIdx=0 oIdx=0 buffer=3 iui=0
_ds_load_b64 v[vgprValuA_X3_I0+4:vgprValuA_X3_I0+4+1], v[vgprLocalReadAddrA] offset:6592 // L -> Reg lro=792 swapByteOffset=0 ti=32 vIdx=1 rIdx=0 oIdx=0 buffer=3 iui=0
s_waitcnt lgkmcnt(10)                              // lgkmcnt=0 vmcnt=-1wait for prior local read local write old=6, new=6 newLW=0 newLR=0
v_mfma_f64_16x16x4_f64 v[0+0:7+0], v[vgprValuB_X1_I0+0+0+0:vgprValuB_X1_I0+0+0+0+1], v[vgprValuA_X1_I0+0+0+0:vgprValuA_X1_I0+0+0+0+1], v[0:7]
/*  mfmaIndex:9  */
/* localReadsVacancy: latencyLeft 5 */
_ds_load_b64 v[vgprValuA_X3_I0+6:vgprValuA_X3_I0+6+1], v[vgprLocalReadAddrA] offset:6600 // L -> Reg lro=792 swapByteOffset=0 ti=32 vIdx=1 rIdx=0 oIdx=0 buffer=3 iui=0
_ds_load_b64 v[vgprValuB_X3_I0+2:vgprValuB_X3_I0+2+1], v[vgprLocalReadAddrB] offset:12992 // L -> Reg lro=1560 swapByteOffset=0 ti=64 vIdx=1 rIdx=0 oIdx=0 buffer=3 iui=0
v_mfma_f64_16x16x4_f64 v[8+0:15+0], v[vgprValuB_X1_I0+0+0+0:vgprValuB_X1_I0+0+0+0+1], v[vgprValuA_X1_I0+2+0+0:vgprValuA_X1_I0+2+0+0+1], v[8:15]
/*  mfmaIndex:10  */
/* localReadsVacancy: latencyLeft 5 */
v_mfma_f64_16x16x4_f64 v[16+0:23+0], v[vgprValuB_X1_I0+0+0+0:vgprValuB_X1_I0+0+0+0+1], v[vgprValuA_X1_I0+4+0+0:vgprValuA_X1_I0+4+0+0+1], v[16:23]
/*  mfmaIndex:11  */
/* localReadsVacancy: latencyLeft 5 */
v_mfma_f64_16x16x4_f64 v[24+0:31+0], v[vgprValuB_X1_I0+0+0+0:vgprValuB_X1_I0+0+0+0+1], v[vgprValuA_X1_I0+6+0+0:vgprValuA_X1_I0+6+0+0+1], v[24:31]
/*  mfmaIndex:12  */
/* localReadsVacancy: latencyLeft 5 */
/* 1 LDS buffer: read-sync-write */
s_waitcnt lgkmcnt(0)                               // 
s_barrier                                          // 
v_mfma_f64_16x16x4_f64 v[56+0:63+0], v[vgprValuB_X1_I0+2+0+0:vgprValuB_X1_I0+2+0+0+1], v[vgprValuA_X1_I0+6+0+0:vgprValuA_X1_I0+6+0+0+1], v[56:63]
/*  mfmaIndex:13  */
s_setprio 3                                        // store optimization
/* sched write - iter 1 writesPerItem=2 */
s_waitcnt vmcnt(0)                                 // lgkmcnt=-1 vmcnt=0wait for global read before writing to local
_ds_store_b64 v[vgprLocalWriteAddrA], v[vgprG2LA+0:vgprG2LA+0+1] offset:0 // lwoA_0_0_0_0 = (0 + 0*LSCA)*(MT0I+PAD) + (0*LSPA) = 0
_ds_store_b64 v[vgprLocalWriteAddrA], v[vgprG2LA+2:vgprG2LA+2+1] offset:528 // lwoA_0_1_0_0 = (1 + 0*LSCA)*(MT0I+PAD) + (0*LSPA) = 528
v_mfma_f64_16x16x4_f64 v[48+0:55+0], v[vgprValuB_X1_I0+2+0+0:vgprValuB_X1_I0+2+0+0+1], v[vgprValuA_X1_I0+4+0+0:vgprValuA_X1_I0+4+0+0+1], v[48:55]
/*  mfmaIndex:14  */
v_mfma_f64_16x16x4_f64 v[40+0:47+0], v[vgprValuB_X1_I0+2+0+0:vgprValuB_X1_I0+2+0+0+1], v[vgprValuA_X1_I0+2+0+0:vgprValuA_X1_I0+2+0+0+1], v[40:47]
/*  mfmaIndex:15  */
/* sched write - iter 1 writesPerItem=2 */
s_waitcnt vmcnt(0)                                 // lgkmcnt=-1 vmcnt=0wait for global read before writing to local
_ds_store_b64 v[vgprLocalWriteAddrA], v[vgprG2LA+4:vgprG2LA+4+1] offset:256 // lwoA_0_0_1_0 = (0 + 0*LSCA)*(MT0I+PAD) + (1*LSPA) = 256
_ds_store_b64 v[vgprLocalWriteAddrA], v[vgprG2LA+6:vgprG2LA+6+1] offset:784 // lwoA_0_1_1_0 = (1 + 0*LSCA)*(MT0I+PAD) + (1*LSPA) = 784
v_mfma_f64_16x16x4_f64 v[32+0:39+0], v[vgprValuB_X1_I0+2+0+0:vgprValuB_X1_I0+2+0+0+1], v[vgprValuA_X1_I0+0+0+0:vgprValuA_X1_I0+0+0+0+1], v[32:39]
/* numPrefetchIter=0 */
/* dataAtIterA=0 numReadsIterA=2 skipReadsIterA=1 readsPerIterA=4 */
/* dataAtIterB=0 numReadsIterB=2 skipReadsIterB=1 readsPerIterB=2 */


/* iter 2 (reset local read pointers iteration)  (swap local read pointers iteration)  */

/*  grEndMfmaIndex:4, lwStartMfmaIndex:13, lwEndMfmaIndex:24  */
/*  numMfmaForLR:5, barrierMfmaIndex:26, LocalWritePerMfma:0.500 */
/*  mfmaIndex:16  */
v_mfma_f64_16x16x4_f64 v[0+0:7+0], v[vgprValuB_X2_I0+0+0+0:vgprValuB_X2_I0+0+0+0+1], v[vgprValuA_X2_I0+0+0+0:vgprValuA_X2_I0+0+0+0+1], v[0:7]
/*  mfmaIndex:17  */
/* sched write - iter 2 writesPerItem=2 */
s_waitcnt vmcnt(0)                                 // lgkmcnt=-1 vmcnt=0wait for global read before writing to local
_ds_store_b64 v[vgprLocalWriteAddrB], v[vgprG2LB+0:vgprG2LB+0+1] offset:0 // lwoB_0_0_0_0 = (0 + 0*LSCB)*(MT1J+PAD) + (0*LSPB) = 0
_ds_store_b64 v[vgprLocalWriteAddrB], v[vgprG2LB+2:vgprG2LB+2+1] offset:1040 // lwoB_0_1_0_0 = (1 + 0*LSCB)*(MT1J+PAD) + (0*LSPB) = 1040
v_mfma_f64_16x16x4_f64 v[8+0:15+0], v[vgprValuB_X2_I0+0+0+0:vgprValuB_X2_I0+0+0+0+1], v[vgprValuA_X2_I0+2+0+0:vgprValuA_X2_I0+2+0+0+1], v[8:15]
/*  mfmaIndex:18  */
v_mfma_f64_16x16x4_f64 v[16+0:23+0], v[vgprValuB_X2_I0+0+0+0:vgprValuB_X2_I0+0+0+0+1], v[vgprValuA_X2_I0+4+0+0:vgprValuA_X2_I0+4+0+0+1], v[16:23]
/*  mfmaIndex:19  */
/* sched write - iter 2 writesPerItem=2 */
s_waitcnt vmcnt(0)                                 // lgkmcnt=-1 vmcnt=0wait for global read before writing to local
_ds_store_b64 v[vgprLocalWriteAddrB], v[vgprG2LB+4:vgprG2LB+4+1] offset:256 // lwoB_0_0_1_0 = (0 + 0*LSCB)*(MT1J+PAD) + (1*LSPB) = 256
_ds_store_b64 v[vgprLocalWriteAddrB], v[vgprG2LB+6:vgprG2LB+6+1] offset:1296 // lwoB_0_1_1_0 = (1 + 0*LSCB)*(MT1J+PAD) + (1*LSPB) = 1296
v_mfma_f64_16x16x4_f64 v[24+0:31+0], v[vgprValuB_X2_I0+0+0+0:vgprValuB_X2_I0+0+0+0+1], v[vgprValuA_X2_I0+6+0+0:vgprValuA_X2_I0+6+0+0+1], v[24:31]
/*  mfmaIndex:20  */
v_mfma_f64_16x16x4_f64 v[56+0:63+0], v[vgprValuB_X2_I0+2+0+0:vgprValuB_X2_I0+2+0+0+1], v[vgprValuA_X2_I0+6+0+0:vgprValuA_X2_I0+6+0+0+1], v[56:63]
/*  mfmaIndex:21  */
/* sched write - iter 2 writesPerItem=2 */
s_waitcnt vmcnt(0)                                 // lgkmcnt=-1 vmcnt=0wait for global read before writing to local
_ds_store_b64 v[vgprLocalWriteAddrB], v[vgprG2LB+8:vgprG2LB+8+1] offset:512 // lwoB_0_0_2_0 = (0 + 0*LSCB)*(MT1J+PAD) + (2*LSPB) = 512
_ds_store_b64 v[vgprLocalWriteAddrB], v[vgprG2LB+10:vgprG2LB+10+1] offset:1552 // lwoB_0_1_2_0 = (1 + 0*LSCB)*(MT1J+PAD) + (2*LSPB) = 1552
v_mfma_f64_16x16x4_f64 v[48+0:55+0], v[vgprValuB_X2_I0+2+0+0:vgprValuB_X2_I0+2+0+0+1], v[vgprValuA_X2_I0+4+0+0:vgprValuA_X2_I0+4+0+0+1], v[48:55]
/*  mfmaIndex:22  */
v_mfma_f64_16x16x4_f64 v[40+0:47+0], v[vgprValuB_X2_I0+2+0+0:vgprValuB_X2_I0+2+0+0+1], v[vgprValuA_X2_I0+2+0+0:vgprValuA_X2_I0+2+0+0+1], v[40:47]
/*  mfmaIndex:23  */
/* sched write - iter 2 writesPerItem=2 */
s_waitcnt vmcnt(0)                                 // lgkmcnt=-1 vmcnt=0wait for global read before writing to local
_ds_store_b64 v[vgprLocalWriteAddrB], v[vgprG2LB+12:vgprG2LB+12+1] offset:768 // lwoB_0_0_3_0 = (0 + 0*LSCB)*(MT1J+PAD) + (3*LSPB) = 768
_ds_store_b64 v[vgprLocalWriteAddrB], v[vgprG2LB+14:vgprG2LB+14+1] offset:1808 // lwoB_0_1_3_0 = (1 + 0*LSCB)*(MT1J+PAD) + (3*LSPB) = 1808

/* local read swap offsets a */

/* local read swap offsets b */

/* local read init pointers a */

/* localReadInitPointers */

/* local read init pointers b */

/* localReadInitPointers */
v_mfma_f64_16x16x4_f64 v[32+0:39+0], v[vgprValuB_X2_I0+2+0+0:vgprValuB_X2_I0+2+0+0+1], v[vgprValuA_X2_I0+0+0+0:vgprValuA_X2_I0+0+0+0+1], v[32:39]


/* iter 3 (swap and reset local write pointers iteration)  */

/*  grEndMfmaIndex:4, lwStartMfmaIndex:13, lwEndMfmaIndex:24  */
/*  numMfmaForLR:5, barrierMfmaIndex:26, LocalWritePerMfma:0.500 */
/*  mfmaIndex:24  */

/* local write swap offsets a */

/* local write swap offsets b */
v_mfma_f64_16x16x4_f64 v[0+0:7+0], v[vgprValuB_X3_I0+0+0+0:vgprValuB_X3_I0+0+0+0+1], v[vgprValuA_X3_I0+0+0+0:vgprValuA_X3_I0+0+0+0+1], v[0:7]
/*  mfmaIndex:25  */
v_mfma_f64_16x16x4_f64 v[8+0:15+0], v[vgprValuB_X3_I0+0+0+0:vgprValuB_X3_I0+0+0+0+1], v[vgprValuA_X3_I0+2+0+0:vgprValuA_X3_I0+2+0+0+1], v[8:15]
s_setprio 0                                        // store optimization
/*  mfmaIndex:26  */
s_waitcnt lgkmcnt(0)                               // lgkmcnt=0 vmcnt=-13wait for local write
// Skip force waitcnt0
s_barrier //
v_mfma_f64_16x16x4_f64 v[16+0:23+0], v[vgprValuB_X3_I0+0+0+0:vgprValuB_X3_I0+0+0+0+1], v[vgprValuA_X3_I0+4+0+0:vgprValuA_X3_I0+4+0+0+1], v[16:23]
/*  mfmaIndex:27  */
s_setprio 3                                        // store optimization
_ds_load_b64 v[vgprValuA_X0_I0+0:vgprValuA_X0_I0+0+1], v[vgprLocalReadAddrA] offset:0 // L -> Reg lro=0 swapByteOffset=0 ti=32 vIdx=0 rIdx=0 oIdx=0 buffer=0 iui=0
_ds_load_b64 v[vgprValuB_X0_I0+0:vgprValuB_X0_I0+0+1], v[vgprLocalReadAddrB] offset:0 // L -> Reg lro=0 swapByteOffset=0 ti=64 vIdx=0 rIdx=0 oIdx=0 buffer=0 iui=0
v_mfma_f64_16x16x4_f64 v[24+0:31+0], v[vgprValuB_X3_I0+0+0+0:vgprValuB_X3_I0+0+0+0+1], v[vgprValuA_X3_I0+6+0+0:vgprValuA_X3_I0+6+0+0+1], v[24:31]
/*  mfmaIndex:28  */
_ds_load_b64 v[vgprValuA_X0_I0+2:vgprValuA_X0_I0+2+1], v[vgprLocalReadAddrA] offset:8 // L -> Reg lro=0 swapByteOffset=0 ti=32 vIdx=0 rIdx=0 oIdx=0 buffer=0 iui=0
_ds_load_b64 v[vgprValuA_X0_I0+4:vgprValuA_X0_I0+4+1], v[vgprLocalReadAddrA] offset:256 // L -> Reg lro=0 swapByteOffset=0 ti=32 vIdx=1 rIdx=0 oIdx=0 buffer=0 iui=0
v_mfma_f64_16x16x4_f64 v[56+0:63+0], v[vgprValuB_X3_I0+2+0+0:vgprValuB_X3_I0+2+0+0+1], v[vgprValuA_X3_I0+6+0+0:vgprValuA_X3_I0+6+0+0+1], v[56:63]
/*  mfmaIndex:29  */
_ds_load_b64 v[vgprValuA_X0_I0+6:vgprValuA_X0_I0+6+1], v[vgprLocalReadAddrA] offset:264 // L -> Reg lro=0 swapByteOffset=0 ti=32 vIdx=1 rIdx=0 oIdx=0 buffer=0 iui=0
_ds_load_b64 v[vgprValuB_X0_I0+2:vgprValuB_X0_I0+2+1], v[vgprLocalReadAddrB] offset:512 // L -> Reg lro=0 swapByteOffset=0 ti=64 vIdx=1 rIdx=0 oIdx=0 buffer=0 iui=0
v_mfma_f64_16x16x4_f64 v[48+0:55+0], v[vgprValuB_X3_I0+2+0+0:vgprValuB_X3_I0+2+0+0+1], v[vgprValuA_X3_I0+4+0+0:vgprValuA_X3_I0+4+0+0+1], v[48:55]
/*  mfmaIndex:30  */
v_mfma_f64_16x16x4_f64 v[40+0:47+0], v[vgprValuB_X3_I0+2+0+0:vgprValuB_X3_I0+2+0+0+1], v[vgprValuA_X3_I0+2+0+0:vgprValuA_X3_I0+2+0+0+1], v[40:47]
/*  mfmaIndex:31  */
v_mfma_f64_16x16x4_f64 v[32+0:39+0], v[vgprValuB_X3_I0+2+0+0:vgprValuB_X3_I0+2+0+0+1], v[vgprValuA_X3_I0+0+0+0:vgprValuA_X3_I0+0+0+0+1], v[32:39]
s_setprio 0                                        // store optimization

label_0014:


/******************************************/
/* Ord. NoLoadLoop - Begin                                      */
/******************************************/


	;; [unrolled: 1-line block ×4, first 2 shown]
/* iter 0 (last unrolled loop) */

/*  grEndMfmaIndex:0, lwStartMfmaIndex:24, lwEndMfmaIndex:24  */
/*  numMfmaForLR:5, barrierMfmaIndex:26, LocalWritePerMfma:0.500 */
/*  mfmaIndex:0  */
s_waitcnt lgkmcnt(0)                               // lgkmcnt=0 vmcnt=-1wait for prior local read local write old=0, new=0 newLW=0 newLR=0
v_mfma_f64_16x16x4_f64 v[0+0:7+0], v[vgprValuB_X0_I0+0+0+0:vgprValuB_X0_I0+0+0+0+1], v[vgprValuA_X0_I0+0+0+0:vgprValuA_X0_I0+0+0+0+1], v[0:7]
/*  mfmaIndex:1  */
_ds_load_b64 v[vgprValuA_X1_I0+0:vgprValuA_X1_I0+0+1], v[vgprLocalReadAddrA] offset:2112 // L -> Reg lro=264 swapByteOffset=0 ti=32 vIdx=0 rIdx=0 oIdx=0 buffer=1 iui=0
_ds_load_b64 v[vgprValuB_X1_I0+0:vgprValuB_X1_I0+0+1], v[vgprLocalReadAddrB] offset:4160 // L -> Reg lro=520 swapByteOffset=0 ti=64 vIdx=0 rIdx=0 oIdx=0 buffer=1 iui=0
v_mfma_f64_16x16x4_f64 v[8+0:15+0], v[vgprValuB_X0_I0+0+0+0:vgprValuB_X0_I0+0+0+0+1], v[vgprValuA_X0_I0+2+0+0:vgprValuA_X0_I0+2+0+0+1], v[8:15]
/*  mfmaIndex:2  */
_ds_load_b64 v[vgprValuA_X1_I0+2:vgprValuA_X1_I0+2+1], v[vgprLocalReadAddrA] offset:2120 // L -> Reg lro=264 swapByteOffset=0 ti=32 vIdx=0 rIdx=0 oIdx=0 buffer=1 iui=0
_ds_load_b64 v[vgprValuA_X1_I0+4:vgprValuA_X1_I0+4+1], v[vgprLocalReadAddrA] offset:2368 // L -> Reg lro=264 swapByteOffset=0 ti=32 vIdx=1 rIdx=0 oIdx=0 buffer=1 iui=0
v_mfma_f64_16x16x4_f64 v[16+0:23+0], v[vgprValuB_X0_I0+0+0+0:vgprValuB_X0_I0+0+0+0+1], v[vgprValuA_X0_I0+4+0+0:vgprValuA_X0_I0+4+0+0+1], v[16:23]
/*  mfmaIndex:3  */
_ds_load_b64 v[vgprValuA_X1_I0+6:vgprValuA_X1_I0+6+1], v[vgprLocalReadAddrA] offset:2376 // L -> Reg lro=264 swapByteOffset=0 ti=32 vIdx=1 rIdx=0 oIdx=0 buffer=1 iui=0
_ds_load_b64 v[vgprValuB_X1_I0+2:vgprValuB_X1_I0+2+1], v[vgprLocalReadAddrB] offset:4672 // L -> Reg lro=520 swapByteOffset=0 ti=64 vIdx=1 rIdx=0 oIdx=0 buffer=1 iui=0
/* localReadsVacancy: latencyLeft 1 */
v_mfma_f64_16x16x4_f64 v[24+0:31+0], v[vgprValuB_X0_I0+0+0+0:vgprValuB_X0_I0+0+0+0+1], v[vgprValuA_X0_I0+6+0+0:vgprValuA_X0_I0+6+0+0+1], v[24:31]
/*  mfmaIndex:4  */
/* localReadsVacancy: latencyLeft 5 */
_ds_load_b64 v[vgprValuA_X2_I0+0:vgprValuA_X2_I0+0+1], v[vgprLocalReadAddrA] offset:4224 // L -> Reg lro=528 swapByteOffset=0 ti=32 vIdx=0 rIdx=0 oIdx=0 buffer=2 iui=0
_ds_load_b64 v[vgprValuB_X2_I0+0:vgprValuB_X2_I0+0+1], v[vgprLocalReadAddrB] offset:8320 // L -> Reg lro=1040 swapByteOffset=0 ti=64 vIdx=0 rIdx=0 oIdx=0 buffer=2 iui=0
v_mfma_f64_16x16x4_f64 v[56+0:63+0], v[vgprValuB_X0_I0+2+0+0:vgprValuB_X0_I0+2+0+0+1], v[vgprValuA_X0_I0+6+0+0:vgprValuA_X0_I0+6+0+0+1], v[56:63]
/*  mfmaIndex:5  */
/* localReadsVacancy: latencyLeft 5 */
_ds_load_b64 v[vgprValuA_X2_I0+2:vgprValuA_X2_I0+2+1], v[vgprLocalReadAddrA] offset:4232 // L -> Reg lro=528 swapByteOffset=0 ti=32 vIdx=0 rIdx=0 oIdx=0 buffer=2 iui=0
_ds_load_b64 v[vgprValuA_X2_I0+4:vgprValuA_X2_I0+4+1], v[vgprLocalReadAddrA] offset:4480 // L -> Reg lro=528 swapByteOffset=0 ti=32 vIdx=1 rIdx=0 oIdx=0 buffer=2 iui=0
v_mfma_f64_16x16x4_f64 v[48+0:55+0], v[vgprValuB_X0_I0+2+0+0:vgprValuB_X0_I0+2+0+0+1], v[vgprValuA_X0_I0+4+0+0:vgprValuA_X0_I0+4+0+0+1], v[48:55]
/*  mfmaIndex:6  */
/* localReadsVacancy: latencyLeft 5 */
_ds_load_b64 v[vgprValuA_X2_I0+6:vgprValuA_X2_I0+6+1], v[vgprLocalReadAddrA] offset:4488 // L -> Reg lro=528 swapByteOffset=0 ti=32 vIdx=1 rIdx=0 oIdx=0 buffer=2 iui=0
_ds_load_b64 v[vgprValuB_X2_I0+2:vgprValuB_X2_I0+2+1], v[vgprLocalReadAddrB] offset:8832 // L -> Reg lro=1040 swapByteOffset=0 ti=64 vIdx=1 rIdx=0 oIdx=0 buffer=2 iui=0
v_mfma_f64_16x16x4_f64 v[40+0:47+0], v[vgprValuB_X0_I0+2+0+0:vgprValuB_X0_I0+2+0+0+1], v[vgprValuA_X0_I0+2+0+0:vgprValuA_X0_I0+2+0+0+1], v[40:47]
/*  mfmaIndex:7  */
/* localReadsVacancy: latencyLeft 5 */
_ds_load_b64 v[vgprValuA_X3_I0+0:vgprValuA_X3_I0+0+1], v[vgprLocalReadAddrA] offset:6336 // L -> Reg lro=792 swapByteOffset=0 ti=32 vIdx=0 rIdx=0 oIdx=0 buffer=3 iui=0
_ds_load_b64 v[vgprValuB_X3_I0+0:vgprValuB_X3_I0+0+1], v[vgprLocalReadAddrB] offset:12480 // L -> Reg lro=1560 swapByteOffset=0 ti=64 vIdx=0 rIdx=0 oIdx=0 buffer=3 iui=0
v_mfma_f64_16x16x4_f64 v[32+0:39+0], v[vgprValuB_X0_I0+2+0+0:vgprValuB_X0_I0+2+0+0+1], v[vgprValuA_X0_I0+0+0+0:vgprValuA_X0_I0+0+0+0+1], v[32:39]
/* numPrefetchIter=0 */
/* dataAtIterA=-1 numReadsIterA=1 skipReadsIterA=1 readsPerIterA=4 */
/* dataAtIterB=-1 numReadsIterB=1 skipReadsIterB=1 readsPerIterB=2 */


/* iter 1 (last unrolled loop) */

/*  grEndMfmaIndex:0, lwStartMfmaIndex:24, lwEndMfmaIndex:24  */
/*  numMfmaForLR:5, barrierMfmaIndex:26, LocalWritePerMfma:0.500 */
/*  mfmaIndex:8  */
/* localReadsVacancy: latencyLeft 5 */
_ds_load_b64 v[vgprValuA_X3_I0+2:vgprValuA_X3_I0+2+1], v[vgprLocalReadAddrA] offset:6344 // L -> Reg lro=792 swapByteOffset=0 ti=32 vIdx=0 rIdx=0 oIdx=0 buffer=3 iui=0
_ds_load_b64 v[vgprValuA_X3_I0+4:vgprValuA_X3_I0+4+1], v[vgprLocalReadAddrA] offset:6592 // L -> Reg lro=792 swapByteOffset=0 ti=32 vIdx=1 rIdx=0 oIdx=0 buffer=3 iui=0
s_waitcnt lgkmcnt(10)                              // lgkmcnt=0 vmcnt=-1wait for prior local read local write old=6, new=6 newLW=0 newLR=0
v_mfma_f64_16x16x4_f64 v[0+0:7+0], v[vgprValuB_X1_I0+0+0+0:vgprValuB_X1_I0+0+0+0+1], v[vgprValuA_X1_I0+0+0+0:vgprValuA_X1_I0+0+0+0+1], v[0:7]
/*  mfmaIndex:9  */
/* localReadsVacancy: latencyLeft 5 */
_ds_load_b64 v[vgprValuA_X3_I0+6:vgprValuA_X3_I0+6+1], v[vgprLocalReadAddrA] offset:6600 // L -> Reg lro=792 swapByteOffset=0 ti=32 vIdx=1 rIdx=0 oIdx=0 buffer=3 iui=0
_ds_load_b64 v[vgprValuB_X3_I0+2:vgprValuB_X3_I0+2+1], v[vgprLocalReadAddrB] offset:12992 // L -> Reg lro=1560 swapByteOffset=0 ti=64 vIdx=1 rIdx=0 oIdx=0 buffer=3 iui=0
v_mfma_f64_16x16x4_f64 v[8+0:15+0], v[vgprValuB_X1_I0+0+0+0:vgprValuB_X1_I0+0+0+0+1], v[vgprValuA_X1_I0+2+0+0:vgprValuA_X1_I0+2+0+0+1], v[8:15]
/*  mfmaIndex:10  */
/* localReadsVacancy: latencyLeft 5 */
v_mfma_f64_16x16x4_f64 v[16+0:23+0], v[vgprValuB_X1_I0+0+0+0:vgprValuB_X1_I0+0+0+0+1], v[vgprValuA_X1_I0+4+0+0:vgprValuA_X1_I0+4+0+0+1], v[16:23]
/*  mfmaIndex:11  */
/* localReadsVacancy: latencyLeft 5 */
	;; [unrolled: 3-line block ×6, first 2 shown]
v_mfma_f64_16x16x4_f64 v[32+0:39+0], v[vgprValuB_X1_I0+2+0+0:vgprValuB_X1_I0+2+0+0+1], v[vgprValuA_X1_I0+0+0+0:vgprValuA_X1_I0+0+0+0+1], v[32:39]
/* numPrefetchIter=0 */
/* dataAtIterA=0 numReadsIterA=2 skipReadsIterA=1 readsPerIterA=4 */
/* dataAtIterB=0 numReadsIterB=2 skipReadsIterB=1 readsPerIterB=2 */


/* iter 2 (last unrolled loop) */

/*  grEndMfmaIndex:0, lwStartMfmaIndex:24, lwEndMfmaIndex:24  */
/*  numMfmaForLR:5, barrierMfmaIndex:26, LocalWritePerMfma:0.500 */
/*  mfmaIndex:16  */
/* localReadsVacancy: latencyLeft 5 */
s_waitcnt lgkmcnt(4)                               // lgkmcnt=0 vmcnt=-1wait for prior local read local write old=4, new=4 newLW=0 newLR=0
v_mfma_f64_16x16x4_f64 v[0+0:7+0], v[vgprValuB_X2_I0+0+0+0:vgprValuB_X2_I0+0+0+0+1], v[vgprValuA_X2_I0+0+0+0:vgprValuA_X2_I0+0+0+0+1], v[0:7]
/*  mfmaIndex:17  */
/* localReadsVacancy: latencyLeft 5 */
v_mfma_f64_16x16x4_f64 v[8+0:15+0], v[vgprValuB_X2_I0+0+0+0:vgprValuB_X2_I0+0+0+0+1], v[vgprValuA_X2_I0+2+0+0:vgprValuA_X2_I0+2+0+0+1], v[8:15]
/*  mfmaIndex:18  */
/* localReadsVacancy: latencyLeft 5 */
	;; [unrolled: 3-line block ×7, first 2 shown]
/* 1 LDS buffer: read-sync-write */
s_waitcnt lgkmcnt(0)                               // 
s_barrier                                          // 
v_mfma_f64_16x16x4_f64 v[32+0:39+0], v[vgprValuB_X2_I0+2+0+0:vgprValuB_X2_I0+2+0+0+1], v[vgprValuA_X2_I0+0+0+0:vgprValuA_X2_I0+0+0+0+1], v[32:39]
/* numPrefetchIter=0 */
/* dataAtIterA=1 numReadsIterA=3 skipReadsIterA=1 readsPerIterA=4 */
/* dataAtIterB=1 numReadsIterB=3 skipReadsIterB=1 readsPerIterB=2 */


/* iter 3 (last unrolled loop) */

/*  grEndMfmaIndex:0, lwStartMfmaIndex:24, lwEndMfmaIndex:24  */
/*  numMfmaForLR:5, barrierMfmaIndex:26, LocalWritePerMfma:0.500 */
/*  mfmaIndex:24  */
s_setprio 3                                        // store optimization
s_waitcnt lgkmcnt(0)                               // lgkmcnt=0 vmcnt=-1wait for prior local read local write old=0, new=0 newLW=0 newLR=0
v_mfma_f64_16x16x4_f64 v[0+0:7+0], v[vgprValuB_X3_I0+0+0+0:vgprValuB_X3_I0+0+0+0+1], v[vgprValuA_X3_I0+0+0+0:vgprValuA_X3_I0+0+0+0+1], v[0:7]
/*  mfmaIndex:25  */
v_mfma_f64_16x16x4_f64 v[8+0:15+0], v[vgprValuB_X3_I0+0+0+0:vgprValuB_X3_I0+0+0+0+1], v[vgprValuA_X3_I0+2+0+0:vgprValuA_X3_I0+2+0+0+1], v[8:15]
s_setprio 0                                        // store optimization
/*  mfmaIndex:26  */
v_mfma_f64_16x16x4_f64 v[16+0:23+0], v[vgprValuB_X3_I0+0+0+0:vgprValuB_X3_I0+0+0+0+1], v[vgprValuA_X3_I0+4+0+0:vgprValuA_X3_I0+4+0+0+1], v[16:23]
/*  mfmaIndex:27  */
s_setprio 3                                        // store optimization
v_mfma_f64_16x16x4_f64 v[24+0:31+0], v[vgprValuB_X3_I0+0+0+0:vgprValuB_X3_I0+0+0+0+1], v[vgprValuA_X3_I0+6+0+0:vgprValuA_X3_I0+6+0+0+1], v[24:31]
/*  mfmaIndex:28  */
v_mfma_f64_16x16x4_f64 v[56+0:63+0], v[vgprValuB_X3_I0+2+0+0:vgprValuB_X3_I0+2+0+0+1], v[vgprValuA_X3_I0+6+0+0:vgprValuA_X3_I0+6+0+0+1], v[56:63]
/*  mfmaIndex:29  */
v_mfma_f64_16x16x4_f64 v[48+0:55+0], v[vgprValuB_X3_I0+2+0+0:vgprValuB_X3_I0+2+0+0+1], v[vgprValuA_X3_I0+4+0+0:vgprValuA_X3_I0+4+0+0+1], v[48:55]
/*  mfmaIndex:30  */
v_mfma_f64_16x16x4_f64 v[40+0:47+0], v[vgprValuB_X3_I0+2+0+0:vgprValuB_X3_I0+2+0+0+1], v[vgprValuA_X3_I0+2+0+0:vgprValuA_X3_I0+2+0+0+1], v[40:47]
/*  mfmaIndex:31  */
v_mfma_f64_16x16x4_f64 v[32+0:39+0], v[vgprValuB_X3_I0+2+0+0:vgprValuB_X3_I0+2+0+0+1], v[vgprValuA_X3_I0+0+0+0:vgprValuA_X3_I0+0+0+0+1], v[32:39]
/* numPrefetchIter=0 */
/* dataAtIterA=2 numReadsIterA=3 skipReadsIterA=0 readsPerIterA=4 */
/* dataAtIterB=2 numReadsIterB=3 skipReadsIterB=0 readsPerIterB=2 */

PrefetchGlobalLastIterEnd_5:


/******************************************/
/* Tail Loop                              */
/******************************************/


/* local write reset offsets a */


	;; [unrolled: 1-line block ×3, first 2 shown]
/* local write reset offsets b */



//numIterL = (((sizeL % LOCAL_DEPTHU) + LOCAL_SPLITU - 1) / LOCAL_SPLITU)
s_and_b32 s[sgprLoopCounterL], 15, s[sgprSizesSum+0] // s[sgprLoopCounterL] = s[sgprSizesSum+0] % 16
s_cmp_eq_u32 s[sgprLoopCounterL], 0x0              // numIterL == 0
s_cbranch_scc1 SkipTailLoopL_8                     // skip to end of tail loop b/c numIter==0
s_mov_b32 s[sgprOrigLoopCounter], 0                // repurpose to count each localRead increment


/* Update M0 for DTLDS */



/* global read a */

/* global addressing - max read address = Tensor2dSizeA */
s_mul_hi_u32 s1, s[sgprWorkGroup2], s[sgprStrideAK] // 64b tensorA size in elements
s_mul_i32 s0, s[sgprWorkGroup2], s[sgprStrideAK]   // 64b tensorA size in elements
s_add_u32 s0, s[sgprTensor2dSizeA], s0             // add Tensor2dSizeA
s_addc_u32 s1, s[sgprTensor2dSizeA+1], s1          // add Tensor2dSizeA
s_lshl_b64 s[0:1], s[0:1], 0x3                     // <- tensorA size in bytes
s_add_u32 s0, s16, s0                              // prepend address lower
s_addc_u32 s1, s17, s1                             // prepend address upper
v_mov_b32 v158, s0                                 // sgpr->vgpr
v_mov_b32 v159, s1                                 // sgpr->vgpr
s_mov_b64 s[0:1], 0xFFFFFFFFFFFFFFFF               // to restore all threads active
v_mov_b32 v157, 0x8                                // bpe*numElementsPerLoad
v_mov_b32 v160, 0x0                                // zero
/* g2l=0, load component 0 */
_v_cmpx_lt_u64 vcc, v[vgprGlobalReadAddrA+0:vgprGlobalReadAddrA+0+1], v[158:159] // addr < maxAddr
_global_load_b64 v[vgprG2LA+0+0:vgprG2LA+0+0+1], v[vgprGlobalReadAddrA+0:vgprGlobalReadAddrA+0+1], off, offset:0 // load one global value
s_or_saveexec_b64 vcc, s[0:1]                      // all threads active
_v_add_co_u32 v[vgprGlobalReadAddrA+0+0], vcc, v[vgprGlobalReadAddrA+0+0], v157 // gra += 1 (lower)
_v_addc_co_u32 v[vgprGlobalReadAddrA+0+1], vcc, v[vgprGlobalReadAddrA+0+1], v160, vcc // gra += 1 (upper)
/* g2l=0, load component 1 */
_v_cmpx_lt_u64 vcc, v[vgprGlobalReadAddrA+0:vgprGlobalReadAddrA+0+1], v[158:159] // addr < maxAddr
_global_load_b64 v[vgprG2LA+0+2:vgprG2LA+0+2+1], v[vgprGlobalReadAddrA+0:vgprGlobalReadAddrA+0+1], off, offset:0 // load one global value
s_or_saveexec_b64 vcc, s[0:1]                      // all threads active
_v_add_co_u32 v[vgprGlobalReadAddrA+0+0], vcc, v[vgprGlobalReadAddrA+0+0], v157 // gra += 1 (lower)
_v_addc_co_u32 v[vgprGlobalReadAddrA+0+1], vcc, v[vgprGlobalReadAddrA+0+1], v160, vcc // gra += 1 (upper)
	;; [unrolled: 6-line block ×4, first 2 shown]


/* Update M0 for DTLDS */



/* global read b */

/* global addressing - max read address = Tensor2dSizeB */
s_mul_hi_u32 s1, s[sgprWorkGroup2], s[sgprStrideBK] // 64b tensorB size in elements
s_mul_i32 s0, s[sgprWorkGroup2], s[sgprStrideBK]   // 64b tensorB size in elements
s_add_u32 s0, s[sgprTensor2dSizeB], s0             // add Tensor2dSizeB
s_addc_u32 s1, s[sgprTensor2dSizeB+1], s1          // add Tensor2dSizeB
s_lshl_b64 s[0:1], s[0:1], 0x3                     // <- tensorB size in bytes
s_add_u32 s0, s18, s0                              // prepend address lower
s_addc_u32 s1, s19, s1                             // prepend address upper
v_mov_b32 v158, s0                                 // sgpr->vgpr
v_mov_b32 v159, s1                                 // sgpr->vgpr
s_mov_b64 s[0:1], 0xFFFFFFFFFFFFFFFF               // to restore all threads active
v_mov_b32 v157, 0x8                                // bpe*numElementsPerLoad
v_mov_b32 v160, 0x0                                // zero
/* g2l=0, load component 0 */
_v_cmpx_lt_u64 vcc, v[vgprGlobalReadAddrB+0:vgprGlobalReadAddrB+0+1], v[158:159] // addr < maxAddr
_global_load_b64 v[vgprG2LB+0+0:vgprG2LB+0+0+1], v[vgprGlobalReadAddrB+0:vgprGlobalReadAddrB+0+1], off, offset:0 // load one global value
s_or_saveexec_b64 vcc, s[0:1]                      // all threads active
_v_add_co_u32 v[vgprGlobalReadAddrB+0+0], vcc, v[vgprGlobalReadAddrB+0+0], v157 // gra += 1 (lower)
_v_addc_co_u32 v[vgprGlobalReadAddrB+0+1], vcc, v[vgprGlobalReadAddrB+0+1], v160, vcc // gra += 1 (upper)
/* g2l=0, load component 1 */
_v_cmpx_lt_u64 vcc, v[vgprGlobalReadAddrB+0:vgprGlobalReadAddrB+0+1], v[158:159] // addr < maxAddr
_global_load_b64 v[vgprG2LB+0+2:vgprG2LB+0+2+1], v[vgprGlobalReadAddrB+0:vgprGlobalReadAddrB+0+1], off, offset:0 // load one global value
s_or_saveexec_b64 vcc, s[0:1]                      // all threads active
_v_add_co_u32 v[vgprGlobalReadAddrB+0+0], vcc, v[vgprGlobalReadAddrB+0+0], v157 // gra += 1 (lower)
_v_addc_co_u32 v[vgprGlobalReadAddrB+0+1], vcc, v[vgprGlobalReadAddrB+0+1], v160, vcc // gra += 1 (upper)
	;; [unrolled: 6-line block ×8, first 2 shown]

s_waitcnt vmcnt(0)                                 // lgkmcnt=-1 vmcnt=02wait for global read

// Skip force waitcnt0
s_barrier //


/* Done global A/B reads */


	;; [unrolled: 1-line block ×4, first 2 shown]
/* local write a */

_ds_store_b64 v[vgprLocalWriteAddrA], v[vgprG2LA+0:vgprG2LA+0+1] offset:0 // lwoA_0_0_0_0 = (0 + 0*LSCA)*(MT0I+PAD) + (0*LSPA) = 0
_ds_store_b64 v[vgprLocalWriteAddrA], v[vgprG2LA+2:vgprG2LA+2+1] offset:528 // lwoA_0_1_0_0 = (1 + 0*LSCA)*(MT0I+PAD) + (0*LSPA) = 528
_ds_store_b64 v[vgprLocalWriteAddrA], v[vgprG2LA+4:vgprG2LA+4+1] offset:256 // lwoA_0_0_1_0 = (0 + 0*LSCA)*(MT0I+PAD) + (1*LSPA) = 256
_ds_store_b64 v[vgprLocalWriteAddrA], v[vgprG2LA+6:vgprG2LA+6+1] offset:784 // lwoA_0_1_1_0 = (1 + 0*LSCA)*(MT0I+PAD) + (1*LSPA) = 784


/* local write b */

_ds_store_b64 v[vgprLocalWriteAddrB], v[vgprG2LB+0:vgprG2LB+0+1] offset:0 // lwoB_0_0_0_0 = (0 + 0*LSCB)*(MT1J+PAD) + (0*LSPB) = 0
_ds_store_b64 v[vgprLocalWriteAddrB], v[vgprG2LB+2:vgprG2LB+2+1] offset:1040 // lwoB_0_1_0_0 = (1 + 0*LSCB)*(MT1J+PAD) + (0*LSPB) = 1040
_ds_store_b64 v[vgprLocalWriteAddrB], v[vgprG2LB+4:vgprG2LB+4+1] offset:256 // lwoB_0_0_1_0 = (0 + 0*LSCB)*(MT1J+PAD) + (1*LSPB) = 256
_ds_store_b64 v[vgprLocalWriteAddrB], v[vgprG2LB+6:vgprG2LB+6+1] offset:1296 // lwoB_0_1_1_0 = (1 + 0*LSCB)*(MT1J+PAD) + (1*LSPB) = 1296
_ds_store_b64 v[vgprLocalWriteAddrB], v[vgprG2LB+8:vgprG2LB+8+1] offset:512 // lwoB_0_0_2_0 = (0 + 0*LSCB)*(MT1J+PAD) + (2*LSPB) = 512
_ds_store_b64 v[vgprLocalWriteAddrB], v[vgprG2LB+10:vgprG2LB+10+1] offset:1552 // lwoB_0_1_2_0 = (1 + 0*LSCB)*(MT1J+PAD) + (2*LSPB) = 1552
_ds_store_b64 v[vgprLocalWriteAddrB], v[vgprG2LB+12:vgprG2LB+12+1] offset:768 // lwoB_0_0_3_0 = (0 + 0*LSCB)*(MT1J+PAD) + (3*LSPB) = 768
_ds_store_b64 v[vgprLocalWriteAddrB], v[vgprG2LB+14:vgprG2LB+14+1] offset:1808 // lwoB_0_1_3_0 = (1 + 0*LSCB)*(MT1J+PAD) + (3*LSPB) = 1808


/* Recalc local read offsets */


s_waitcnt lgkmcnt(0)                               // lgkmcnt=0 vmcnt=-15wait for local write

// Skip force waitcnt0
s_barrier //


/* local read reset offsets a */


	;; [unrolled: 1-line block ×3, first 2 shown]
/* local read reset offsets b */


	;; [unrolled: 1-line block ×3, first 2 shown]
/* local read init pointers a */


/* localReadInitPointers */


/* local read init pointers b */


/* localReadInitPointers */


/* tail loop: macs */

TailLoopBeginL_6:


/* local read a */

_ds_load_b64 v[vgprValuA_X0_I0+0:vgprValuA_X0_I0+0+1], v[vgprLocalReadAddrA] offset:0 // L -> Reg lro=0 swapByteOffset=0 ti=32 vIdx=0 rIdx=0 oIdx=0 buffer=0 iui=0
_ds_load_b64 v[vgprValuA_X0_I0+2:vgprValuA_X0_I0+2+1], v[vgprLocalReadAddrA] offset:8 // L -> Reg lro=0 swapByteOffset=0 ti=32 vIdx=0 rIdx=0 oIdx=0 buffer=0 iui=0
	;; [unrolled: 1-line block ×4, first 2 shown]


/* local read b */

_ds_load_b64 v[vgprValuB_X0_I0+0:vgprValuB_X0_I0+0+1], v[vgprLocalReadAddrB] offset:0 // L -> Reg lro=0 swapByteOffset=0 ti=64 vIdx=0 rIdx=0 oIdx=0 buffer=0 iui=0
_ds_load_b64 v[vgprValuB_X0_I0+2:vgprValuB_X0_I0+2+1], v[vgprLocalReadAddrB] offset:512 // L -> Reg lro=0 swapByteOffset=0 ti=64 vIdx=1 rIdx=0 oIdx=0 buffer=0 iui=0


/* local read inc a */

s_mov_b32 s0, 0x840                                // inc
_v_add_co_u32 v[vgprLocalReadAddrA], vcc, s0, v[vgprLocalReadAddrA] // lrA += 2112 (LSU*(MT+PAD)*bpe)


/* local read inc b */

s_mov_b32 s0, 0x1040                               // inc
_v_add_co_u32 v[vgprLocalReadAddrB], vcc, s0, v[vgprLocalReadAddrB] // lrB += 4160 (LSU*(MT+PAD)*bpe)

s_waitcnt lgkmcnt(0)                               // lgkmcnt=0 vmcnt=-14wait for local read


	;; [unrolled: 1-line block ×3, first 2 shown]
/* tail loop mfma iter 0: numReadsIterCoalescedA=1, numReadsIterCoalescedB=1 */
v_and_b32 v157, 63, v[vgprSerial]                  // v157 = v[vgprSerial] % 64
v_lshrrev_b32 v157, 4, v157                        // v157 = v157 / 16
                                                   // v157 = v157 * 1 (multiplier is 1, do nothing)
v_cmp_ge_i32 s[42:43], v157, s[sgprLoopCounterL]   // check K index >= Size L
v_cndmask_b32 v[vgprValuA_X0_I0+0+0+0+0], v[vgprValuA_X0_I0+0+0+0+0], 0x0, s[42:43] // set 0 if K_idx >= sizeL
v_cndmask_b32 v[vgprValuA_X0_I0+2+0+0+0], v[vgprValuA_X0_I0+2+0+0+0], 0x0, s[42:43] // set 0 if K_idx >= sizeL
	;; [unrolled: 1-line block ×4, first 2 shown]
v_cndmask_b32 v[vgprValuB_X0_I0+0+0+0+0], v[vgprValuB_X0_I0+0+0+0+0], 0x0, s[42:43] // set 0 if K_idx >= sizeL
v_cndmask_b32 v[vgprValuB_X0_I0+2+0+0+0], v[vgprValuB_X0_I0+2+0+0+0], 0x0, s[42:43] // set 0 if K_idx >= sizeL
v_cndmask_b32 v[vgprValuA_X0_I0+0+0+0+1], v[vgprValuA_X0_I0+0+0+0+1], 0x0, s[42:43] // set 0 if K_idx >= sizeL
v_cndmask_b32 v[vgprValuA_X0_I0+2+0+0+1], v[vgprValuA_X0_I0+2+0+0+1], 0x0, s[42:43] // set 0 if K_idx >= sizeL
	;; [unrolled: 1-line block ×4, first 2 shown]
v_cndmask_b32 v[vgprValuB_X0_I0+0+0+0+1], v[vgprValuB_X0_I0+0+0+0+1], 0x0, s[42:43] // set 0 if K_idx >= sizeL
v_cndmask_b32 v[vgprValuB_X0_I0+2+0+0+1], v[vgprValuB_X0_I0+2+0+0+1], 0x0, s[42:43] // set 0 if K_idx >= sizeL
s_nop 1
v_mfma_f64_16x16x4_f64 v[0+0:7+0], v[vgprValuB_X0_I0+0+0+0:vgprValuB_X0_I0+0+0+0+1], v[vgprValuA_X0_I0+0+0+0:vgprValuA_X0_I0+0+0+0+1], v[0:7]
v_mfma_f64_16x16x4_f64 v[8+0:15+0], v[vgprValuB_X0_I0+0+0+0:vgprValuB_X0_I0+0+0+0+1], v[vgprValuA_X0_I0+2+0+0:vgprValuA_X0_I0+2+0+0+1], v[8:15]
	;; [unrolled: 1-line block ×8, first 2 shown]


/* closeLoop loopL finalLoop=1 tailLoop=1 */
s_sub_i32 s[sgprLoopCounterL], s[sgprLoopCounterL], 0x4 // dec counterL (tailLoop)
s_add_u32 s[sgprOrigLoopCounter], s[sgprOrigLoopCounter], 0x4 // inc counterL
s_cmp_le_i32 s[sgprLoopCounterL], 0x0              // counterL<=0
s_cbranch_scc0 TailLoopBeginL_6                    // restart LoopL
TailLoopEndL_7:

SkipTailLoopL_8:

Summation_End_18:
s_setprio 0                                        // optimization store
/* endSummation: add vgpr [64...154) to pool */
.set NumFullBlocks, UNDEF
.set WgmRemainder1, UNDEF
.set MagicNumberWgmRemainder1, UNDEF

/* Mapping of Acc register -> C Vgpr register */

/* Multiply MI out register with Alpha -> C Vgpr register */


	;; [unrolled: 1-line block ×3, first 2 shown]
/* not-LocalSplitU: global write indices */

/* computeStoreVgprs */
v_lshrrev_b32 v66, 6, v[vgprSerial]                // v66 = v[vgprSerial] / 64
v_and_b32 v65, 63, v[vgprSerial]                   // v65 = v[vgprSerial] % 64
v_lshrrev_b32 v65, 4, v65                          // v65 = v65 / 16
                                                   // thread0 * continuous_output (multiplier is 1, do nothing)
v_lshrrev_b32 v67, 0, v66                          // v67 = v66 / 1
v_mul_lo_u32 v67, 0x10, v67                        // wave coordination offset 1
_v_add_lshl_u32 v65, v67, v65, 0                   // coordination 1 = vwb *(wave_id1 + tid1)
v_and_b32 v67, 0, v66                              // v67 = v66 % 1
v_and_b32 v64, 15, v[vgprSerial]                   // v64 = v[vgprSerial] % 16
_v_add_lshl_u32 v64, v67, v64, 1                   // coordination 0 = vwa *(wave_id0 + tid0)
s_mul_i32 s0, 64, s[sgprWorkGroup0]                // wgp0 * MT0
_v_add_u32 v64, s0, v64                            // coord 0 = (tid0/MI_m)*4 + waveG0*MIB_m + MT0*SG0
s_mul_i32 s0, 128, s[sgprWorkGroup1]               // wgp1 * MT1
_v_add_u32 v65, s0, v65                            // coord 1 = (tid0%MI_m) + waveG1*MIB_n + MT1*SG1
v_mov_b32 v66, s[sgprAddressD+0]                   // sgpr -> vgpr
v_mov_b32 v67, s[sgprAddressD+1]                   // sgpr -> vgpr
v_mov_b32 v68, s[sgprAddressC+0]                   // sgpr -> vgpr
v_mov_b32 v69, s[sgprAddressC+1]                   // sgpr -> vgpr


/* not-LocalSplitU: global write */

s_mov_b32 s0, s[sgprBeta+0]                        // tmp = Beta[0]
s_or_b32 s0, s[sgprBeta+1], s0                     // tmp |= Beta[1] 
s_cmpk_eq_u32 s0, 0x0                              // Beta == 0
s_cbranch_scc0 GW_Beta_33                          // Branch if Beta is not zero

s_and_b32 s38, 63, s[sgprSizeI]                    // s38 = s[sgprSizeI] % 64
s_add_u32 s39, -0x1, s[sgprNumWorkGroups0]         // 
s_cmp_ge_u32 s[sgprWorkGroup0], s39                // wg0 >= nwg0-1 ?
s_cselect_b32 s38, s38, 0                          // set rMT0
s_cmpk_gt_u32 s38, 0x0                             // rMT0 > 0
s_cbranch_scc1 GW_B0_E1_24                         // jump if edges required
s_and_b32 s38, 127, s[sgprSizeJ]                   // s38 = s[sgprSizeJ] % 128
s_add_u32 s39, -0x1, s[sgprNumWorkGroups1]         // 
s_cmp_ge_u32 s[sgprWorkGroup1], s39                // wg1 >= nwg1-1
s_cselect_b32 s38, s38, 0                          // set rMT1
s_cmpk_gt_u32 s38, 0x0                             // rMT1 > 0
s_cbranch_scc1 GW_B0_E1_24                         // jump if edges required
GW_B0_E0_21:

/* edge=0, allocate 62 sgpr. perBatchTmpS=4 perBatchMaskS=0 perElementMaskS=2 elementsPerBatch=29 */
/* optSingleColVgpr=0 optSharedColVgpr=0 optSGPRUsage=None optSrdIncForRow=0 */
s_sleep 7 // optimization: sync and wait
s_barrier

/******************************************/
/* Global Write Alpha Batch #0 (d1,d0,vc1,vc0) = */
/*    (0,0,0,0:vw2); (0,1,0,0:vw2); (1,0,0,0:vw2); (1,1,0,0:vw2); (2,0,0,0:vw2); (2,1,0,0:vw2); (3,0,0,0:vw2); (3,1,0,0:vw2); (4,0,0,0:vw2); (4,1,0,0:vw2); (5,0,0,0:vw2); (5,1,0,0:vw2); (6,0,0,0:vw2); (6,1,0,0:vw2); (7,0,0,0:vw2); (7,1,0,0:vw2) */
/******************************************/

/* calc coords, apply mask, and issue loads (if necessary) */
/* (d1,vc1,d0,vc0)=(0,0,0,0) */
GLOBAL_OFFSET_D 76, 64, 65, sgprWorkGroup2, 72
v_mov_b32 v72, v76                                 // temp store offset 0
v_mov_b32 v73, v77                                 // temp store offset 1
_v_add_co_u32 v76, vcc, v66, v72                   // addrVgpr = D + index*bytes (lo)
_v_addc_co_u32 v77, vcc, v67, v73, vcc             // addrVgpr = D + index*bytes (hi)
/* (d1,vc1,d0,vc0)=(0,0,1,0) */
_v_add_co_u32 v70, vcc, v64, 32                    // coord0.1: coord0 += d0*sg0*VW + vc0
GLOBAL_OFFSET_D 78, 70, 65, sgprWorkGroup2, 72
v_mov_b32 v72, v78                                 // temp store offset 0
v_mov_b32 v73, v79                                 // temp store offset 1
_v_add_co_u32 v78, vcc, v66, v72                   // addrVgpr = D + index*bytes (lo)
_v_addc_co_u32 v79, vcc, v67, v73, vcc             // addrVgpr = D + index*bytes (hi)
/* (d1,vc1,d0,vc0)=(1,0,0,0) */
_v_add_co_u32 v65, vcc, v65, 4                     // coord1.1: coord1Vgpr += d1*sg1*VW + vc1
GLOBAL_OFFSET_D 88, 64, 65, sgprWorkGroup2, 72
v_mov_b32 v72, v88                                 // temp store offset 0
v_mov_b32 v73, v89                                 // temp store offset 1
_v_add_co_u32 v88, vcc, v66, v72                   // addrVgpr = D + index*bytes (lo)
_v_addc_co_u32 v89, vcc, v67, v73, vcc             // addrVgpr = D + index*bytes (hi)
/* (d1,vc1,d0,vc0)=(1,0,1,0) */
_v_add_co_u32 v70, vcc, v64, 32                    // coord0.1: coord0 += d0*sg0*VW + vc0
GLOBAL_OFFSET_D 90, 70, 65, sgprWorkGroup2, 72
v_mov_b32 v72, v90                                 // temp store offset 0
v_mov_b32 v73, v91                                 // temp store offset 1
_v_add_co_u32 v90, vcc, v66, v72                   // addrVgpr = D + index*bytes (lo)
_v_addc_co_u32 v91, vcc, v67, v73, vcc             // addrVgpr = D + index*bytes (hi)
/* (d1,vc1,d0,vc0)=(2,0,0,0) */
_v_add_co_u32 v65, vcc, v65, 4                     // coord1.1: coord1Vgpr += d1*sg1*VW + vc1
GLOBAL_OFFSET_D 100, 64, 65, sgprWorkGroup2, 72
v_mov_b32 v72, v100                                // temp store offset 0
v_mov_b32 v73, v101                                // temp store offset 1
_v_add_co_u32 v100, vcc, v66, v72                  // addrVgpr = D + index*bytes (lo)
_v_addc_co_u32 v101, vcc, v67, v73, vcc            // addrVgpr = D + index*bytes (hi)
/* (d1,vc1,d0,vc0)=(2,0,1,0) */
_v_add_co_u32 v70, vcc, v64, 32                    // coord0.1: coord0 += d0*sg0*VW + vc0
GLOBAL_OFFSET_D 102, 70, 65, sgprWorkGroup2, 72
v_mov_b32 v72, v102                                // temp store offset 0
v_mov_b32 v73, v103                                // temp store offset 1
_v_add_co_u32 v102, vcc, v66, v72                  // addrVgpr = D + index*bytes (lo)
_v_addc_co_u32 v103, vcc, v67, v73, vcc            // addrVgpr = D + index*bytes (hi)
/* (d1,vc1,d0,vc0)=(3,0,0,0) */
_v_add_co_u32 v65, vcc, v65, 4                     // coord1.1: coord1Vgpr += d1*sg1*VW + vc1
GLOBAL_OFFSET_D 112, 64, 65, sgprWorkGroup2, 72
v_mov_b32 v72, v112                                // temp store offset 0
v_mov_b32 v73, v113                                // temp store offset 1
_v_add_co_u32 v112, vcc, v66, v72                  // addrVgpr = D + index*bytes (lo)
_v_addc_co_u32 v113, vcc, v67, v73, vcc            // addrVgpr = D + index*bytes (hi)
/* (d1,vc1,d0,vc0)=(3,0,1,0) */
_v_add_co_u32 v70, vcc, v64, 32                    // coord0.1: coord0 += d0*sg0*VW + vc0
GLOBAL_OFFSET_D 114, 70, 65, sgprWorkGroup2, 72
v_mov_b32 v72, v114                                // temp store offset 0
v_mov_b32 v73, v115                                // temp store offset 1
_v_add_co_u32 v114, vcc, v66, v72                  // addrVgpr = D + index*bytes (lo)
_v_addc_co_u32 v115, vcc, v67, v73, vcc            // addrVgpr = D + index*bytes (hi)
/* (d1,vc1,d0,vc0)=(4,0,0,0) */
_v_add_co_u32 v65, vcc, v65, 52                    // coord1.1: coord1Vgpr += d1*sg1*VW + vc1
GLOBAL_OFFSET_D 124, 64, 65, sgprWorkGroup2, 72
v_mov_b32 v72, v124                                // temp store offset 0
v_mov_b32 v73, v125                                // temp store offset 1
_v_add_co_u32 v124, vcc, v66, v72                  // addrVgpr = D + index*bytes (lo)
_v_addc_co_u32 v125, vcc, v67, v73, vcc            // addrVgpr = D + index*bytes (hi)
/* (d1,vc1,d0,vc0)=(4,0,1,0) */
_v_add_co_u32 v70, vcc, v64, 32                    // coord0.1: coord0 += d0*sg0*VW + vc0
GLOBAL_OFFSET_D 126, 70, 65, sgprWorkGroup2, 72
v_mov_b32 v72, v126                                // temp store offset 0
v_mov_b32 v73, v127                                // temp store offset 1
_v_add_co_u32 v126, vcc, v66, v72                  // addrVgpr = D + index*bytes (lo)
_v_addc_co_u32 v127, vcc, v67, v73, vcc            // addrVgpr = D + index*bytes (hi)
/* (d1,vc1,d0,vc0)=(5,0,0,0) */
_v_add_co_u32 v65, vcc, v65, 4                     // coord1.1: coord1Vgpr += d1*sg1*VW + vc1
GLOBAL_OFFSET_D 136, 64, 65, sgprWorkGroup2, 72
v_mov_b32 v72, v136                                // temp store offset 0
v_mov_b32 v73, v137                                // temp store offset 1
_v_add_co_u32 v136, vcc, v66, v72                  // addrVgpr = D + index*bytes (lo)
_v_addc_co_u32 v137, vcc, v67, v73, vcc            // addrVgpr = D + index*bytes (hi)
/* (d1,vc1,d0,vc0)=(5,0,1,0) */
_v_add_co_u32 v70, vcc, v64, 32                    // coord0.1: coord0 += d0*sg0*VW + vc0
GLOBAL_OFFSET_D 138, 70, 65, sgprWorkGroup2, 72
v_mov_b32 v72, v138                                // temp store offset 0
v_mov_b32 v73, v139                                // temp store offset 1
_v_add_co_u32 v138, vcc, v66, v72                  // addrVgpr = D + index*bytes (lo)
_v_addc_co_u32 v139, vcc, v67, v73, vcc            // addrVgpr = D + index*bytes (hi)
/* (d1,vc1,d0,vc0)=(6,0,0,0) */
_v_add_co_u32 v65, vcc, v65, 4                     // coord1.1: coord1Vgpr += d1*sg1*VW + vc1
	;; [unrolled: 14-line block ×3, first 2 shown]
GLOBAL_OFFSET_D 152, 64, 65, sgprWorkGroup2, 72
v_mov_b32 v72, v152                                // temp store offset 0
v_mov_b32 v73, v153                                // temp store offset 1
_v_add_co_u32 v152, vcc, v66, v72                  // addrVgpr = D + index*bytes (lo)
_v_addc_co_u32 v153, vcc, v67, v73, vcc            // addrVgpr = D + index*bytes (hi)
/* (d1,vc1,d0,vc0)=(7,0,1,0) */
_v_add_co_u32 v70, vcc, v64, 32                    // coord0.1: coord0 += d0*sg0*VW + vc0
GLOBAL_OFFSET_D 158, 70, 65, sgprWorkGroup2, 72
v_mov_b32 v72, v158                                // temp store offset 0
v_mov_b32 v73, v159                                // temp store offset 1
_v_add_co_u32 v158, vcc, v66, v72                  // addrVgpr = D + index*bytes (lo)
_v_addc_co_u32 v159, vcc, v67, v73, vcc            // addrVgpr = D + index*bytes (hi)

/* rC *= alpha batchElements=[(0, 0, 0, 0), (0, 1, 0, 0), (1, 0, 0, 0), (1, 1, 0, 0), (2, 0, 0, 0), (2, 1, 0, 0), (3, 0, 0, 0), (3, 1, 0, 0), (4, 0, 0, 0), (4, 1, 0, 0), (5, 0, 0, 0), (5, 1, 0, 0), (6, 0, 0, 0), (6, 1, 0, 0), (7, 0, 0, 0), (7, 1, 0, 0)] */
v_mul_f64 v[vgprValuC+80:vgprValuC+80+1], s[sgprAlpha:sgprAlpha+1], v[vgprValuC+0:vgprValuC+0+1] // Multiply MI out reg with alpha
v_mul_f64 v[vgprValuC+82:vgprValuC+82+1], s[sgprAlpha:sgprAlpha+1], v[vgprValuC+8:vgprValuC+8+1] // Multiply MI out reg with alpha
	;; [unrolled: 1-line block ×32, first 2 shown]

/* apply mask, calc new C and issue writes */
_global_store_b128 v[76:77], v[80:83], off,  sc0 sc1 // store D
_global_store_b128 v[78:79], v[84:87], off,  sc0 sc1 // store D
	;; [unrolled: 1-line block ×16, first 2 shown]
s_nop 0                                            // 1 wait state required when next inst writes vgprs held by previous dwordx4 store inst
s_branch label_GW_End_32                           // jump to end
GW_B0_E1_24:

/* edge=1, allocate 64 sgpr. perBatchTmpS=4 perBatchMaskS=0 perElementMaskS=2 elementsPerBatch=30 */
/* optSingleColVgpr=0 optSharedColVgpr=0 optSGPRUsage=None optSrdIncForRow=0 */
s_sleep 7 // optimization: sync and wait
s_barrier

/******************************************/
/* Global Write Alpha Edge Batch #0 (d1,d0,vc1,vc0) = */
/*    (0,0,0,0:vw1); (0,0,0,1:vw1); (0,1,0,0:vw1); (0,1,0,1:vw1); (1,0,0,0:vw1); (1,0,0,1:vw1); (1,1,0,0:vw1); (1,1,0,1:vw1); (2,0,0,0:vw1); (2,0,0,1:vw1); (2,1,0,0:vw1); (2,1,0,1:vw1); (3,0,0,0:vw1); (3,0,0,1:vw1); (3,1,0,0:vw1); (3,1,0,1:vw1); (4,0,0,0:vw1); (4,0,0,1:vw1); (4,1,0,0:vw1); (4,1,0,1:vw1); (5,0,0,0:vw1); (5,0,0,1:vw1); (5,1,0,0:vw1); (5,1,0,1:vw1); (6,0,0,0:vw1); (6,0,0,1:vw1); (6,1,0,0:vw1); (6,1,0,1:vw1); (7,0,0,0:vw1); (7,0,0,1:vw1) */
/******************************************/

/* calc coords, apply mask, and issue loads (if necessary) */
/* (d1,vc1,d0,vc0)=(0,0,0,0) */
GLOBAL_OFFSET_D 76, 64, 65, sgprWorkGroup2, 72
v_mov_b32 v72, v76                                 // temp store offset 0
v_mov_b32 v73, v77                                 // temp store offset 1
v_cmp_lt_u32 s[38:39], v64, s[sgprSizesFree+0]     // coord0 < size0
v_cmp_lt_u32 s[40:41], v65, s[sgprSizesFree+1]     // coord1 < size1
s_and_b64 s[42:43], s[38:39], s[40:41]             // in0 && in1
_v_add_co_u32 v76, vcc, v66, v72                   // addrVgpr = D + index*bytes (lo)
_v_addc_co_u32 v77, vcc, v67, v73, vcc             // addrVgpr = D + index*bytes (hi)
/* (d1,vc1,d0,vc0)=(0,0,0,1) */
_v_add_co_u32 v70, vcc, v64, 1                     // coord0.1: coord0 += d0*sg0*VW + vc0
GLOBAL_OFFSET_D 80, 70, 65, sgprWorkGroup2, 72
v_mov_b32 v72, v80                                 // temp store offset 0
v_mov_b32 v73, v81                                 // temp store offset 1
v_cmp_lt_u32 s[38:39], v70, s[sgprSizesFree+0]     // coord0 < size0
v_cmp_lt_u32 s[40:41], v65, s[sgprSizesFree+1]     // coord1 < size1
s_and_b64 s[44:45], s[38:39], s[40:41]             // in0 && in1
_v_add_co_u32 v80, vcc, v66, v72                   // addrVgpr = D + index*bytes (lo)
_v_addc_co_u32 v81, vcc, v67, v73, vcc             // addrVgpr = D + index*bytes (hi)
/* (d1,vc1,d0,vc0)=(0,0,1,0) */
_v_add_co_u32 v70, vcc, v64, 32                    // coord0.1: coord0 += d0*sg0*VW + vc0
GLOBAL_OFFSET_D 84, 70, 65, sgprWorkGroup2, 72
v_mov_b32 v72, v84                                 // temp store offset 0
v_mov_b32 v73, v85                                 // temp store offset 1
v_cmp_lt_u32 s[38:39], v70, s[sgprSizesFree+0]     // coord0 < size0
v_cmp_lt_u32 s[40:41], v65, s[sgprSizesFree+1]     // coord1 < size1
s_and_b64 s[46:47], s[38:39], s[40:41]             // in0 && in1
_v_add_co_u32 v84, vcc, v66, v72                   // addrVgpr = D + index*bytes (lo)
_v_addc_co_u32 v85, vcc, v67, v73, vcc             // addrVgpr = D + index*bytes (hi)
/* (d1,vc1,d0,vc0)=(0,0,1,1) */
_v_add_co_u32 v70, vcc, v64, 33                    // coord0.1: coord0 += d0*sg0*VW + vc0
GLOBAL_OFFSET_D 88, 70, 65, sgprWorkGroup2, 72
v_mov_b32 v72, v88                                 // temp store offset 0
v_mov_b32 v73, v89                                 // temp store offset 1
v_cmp_lt_u32 s[38:39], v70, s[sgprSizesFree+0]     // coord0 < size0
v_cmp_lt_u32 s[40:41], v65, s[sgprSizesFree+1]     // coord1 < size1
s_and_b64 s[48:49], s[38:39], s[40:41]             // in0 && in1
_v_add_co_u32 v88, vcc, v66, v72                   // addrVgpr = D + index*bytes (lo)
_v_addc_co_u32 v89, vcc, v67, v73, vcc             // addrVgpr = D + index*bytes (hi)
/* (d1,vc1,d0,vc0)=(1,0,0,0) */
_v_add_co_u32 v65, vcc, v65, 4                     // coord1.1: coord1Vgpr += d1*sg1*VW + vc1
GLOBAL_OFFSET_D 92, 64, 65, sgprWorkGroup2, 72
v_mov_b32 v72, v92                                 // temp store offset 0
v_mov_b32 v73, v93                                 // temp store offset 1
v_cmp_lt_u32 s[38:39], v64, s[sgprSizesFree+0]     // coord0 < size0
v_cmp_lt_u32 s[40:41], v65, s[sgprSizesFree+1]     // coord1 < size1
s_and_b64 s[50:51], s[38:39], s[40:41]             // in0 && in1
_v_add_co_u32 v92, vcc, v66, v72                   // addrVgpr = D + index*bytes (lo)
_v_addc_co_u32 v93, vcc, v67, v73, vcc             // addrVgpr = D + index*bytes (hi)
/* (d1,vc1,d0,vc0)=(1,0,0,1) */
_v_add_co_u32 v70, vcc, v64, 1                     // coord0.1: coord0 += d0*sg0*VW + vc0
GLOBAL_OFFSET_D 96, 70, 65, sgprWorkGroup2, 72
v_mov_b32 v72, v96                                 // temp store offset 0
v_mov_b32 v73, v97                                 // temp store offset 1
v_cmp_lt_u32 s[38:39], v70, s[sgprSizesFree+0]     // coord0 < size0
v_cmp_lt_u32 s[40:41], v65, s[sgprSizesFree+1]     // coord1 < size1
s_and_b64 s[52:53], s[38:39], s[40:41]             // in0 && in1
_v_add_co_u32 v96, vcc, v66, v72                   // addrVgpr = D + index*bytes (lo)
_v_addc_co_u32 v97, vcc, v67, v73, vcc             // addrVgpr = D + index*bytes (hi)
/* (d1,vc1,d0,vc0)=(1,0,1,0) */
_v_add_co_u32 v70, vcc, v64, 32                    // coord0.1: coord0 += d0*sg0*VW + vc0
GLOBAL_OFFSET_D 100, 70, 65, sgprWorkGroup2, 72
v_mov_b32 v72, v100                                // temp store offset 0
v_mov_b32 v73, v101                                // temp store offset 1
v_cmp_lt_u32 s[38:39], v70, s[sgprSizesFree+0]     // coord0 < size0
v_cmp_lt_u32 s[40:41], v65, s[sgprSizesFree+1]     // coord1 < size1
s_and_b64 s[54:55], s[38:39], s[40:41]             // in0 && in1
_v_add_co_u32 v100, vcc, v66, v72                  // addrVgpr = D + index*bytes (lo)
_v_addc_co_u32 v101, vcc, v67, v73, vcc            // addrVgpr = D + index*bytes (hi)
/* (d1,vc1,d0,vc0)=(1,0,1,1) */
_v_add_co_u32 v70, vcc, v64, 33                    // coord0.1: coord0 += d0*sg0*VW + vc0
GLOBAL_OFFSET_D 104, 70, 65, sgprWorkGroup2, 72
v_mov_b32 v72, v104                                // temp store offset 0
v_mov_b32 v73, v105                                // temp store offset 1
v_cmp_lt_u32 s[38:39], v70, s[sgprSizesFree+0]     // coord0 < size0
v_cmp_lt_u32 s[40:41], v65, s[sgprSizesFree+1]     // coord1 < size1
s_and_b64 s[56:57], s[38:39], s[40:41]             // in0 && in1
_v_add_co_u32 v104, vcc, v66, v72                  // addrVgpr = D + index*bytes (lo)
_v_addc_co_u32 v105, vcc, v67, v73, vcc            // addrVgpr = D + index*bytes (hi)
/* (d1,vc1,d0,vc0)=(2,0,0,0) */
_v_add_co_u32 v65, vcc, v65, 4                     // coord1.1: coord1Vgpr += d1*sg1*VW + vc1
GLOBAL_OFFSET_D 108, 64, 65, sgprWorkGroup2, 72
v_mov_b32 v72, v108                                // temp store offset 0
v_mov_b32 v73, v109                                // temp store offset 1
v_cmp_lt_u32 s[38:39], v64, s[sgprSizesFree+0]     // coord0 < size0
v_cmp_lt_u32 s[40:41], v65, s[sgprSizesFree+1]     // coord1 < size1
s_and_b64 s[58:59], s[38:39], s[40:41]             // in0 && in1
_v_add_co_u32 v108, vcc, v66, v72                  // addrVgpr = D + index*bytes (lo)
_v_addc_co_u32 v109, vcc, v67, v73, vcc            // addrVgpr = D + index*bytes (hi)
/* (d1,vc1,d0,vc0)=(2,0,0,1) */
_v_add_co_u32 v70, vcc, v64, 1                     // coord0.1: coord0 += d0*sg0*VW + vc0
GLOBAL_OFFSET_D 112, 70, 65, sgprWorkGroup2, 72
v_mov_b32 v72, v112                                // temp store offset 0
v_mov_b32 v73, v113                                // temp store offset 1
v_cmp_lt_u32 s[38:39], v70, s[sgprSizesFree+0]     // coord0 < size0
v_cmp_lt_u32 s[40:41], v65, s[sgprSizesFree+1]     // coord1 < size1
s_and_b64 s[60:61], s[38:39], s[40:41]             // in0 && in1
_v_add_co_u32 v112, vcc, v66, v72                  // addrVgpr = D + index*bytes (lo)
_v_addc_co_u32 v113, vcc, v67, v73, vcc            // addrVgpr = D + index*bytes (hi)
/* (d1,vc1,d0,vc0)=(2,0,1,0) */
_v_add_co_u32 v70, vcc, v64, 32                    // coord0.1: coord0 += d0*sg0*VW + vc0
GLOBAL_OFFSET_D 116, 70, 65, sgprWorkGroup2, 72
v_mov_b32 v72, v116                                // temp store offset 0
v_mov_b32 v73, v117                                // temp store offset 1
v_cmp_lt_u32 s[38:39], v70, s[sgprSizesFree+0]     // coord0 < size0
v_cmp_lt_u32 s[40:41], v65, s[sgprSizesFree+1]     // coord1 < size1
s_and_b64 s[62:63], s[38:39], s[40:41]             // in0 && in1
_v_add_co_u32 v116, vcc, v66, v72                  // addrVgpr = D + index*bytes (lo)
_v_addc_co_u32 v117, vcc, v67, v73, vcc            // addrVgpr = D + index*bytes (hi)
/* (d1,vc1,d0,vc0)=(2,0,1,1) */
_v_add_co_u32 v70, vcc, v64, 33                    // coord0.1: coord0 += d0*sg0*VW + vc0
GLOBAL_OFFSET_D 120, 70, 65, sgprWorkGroup2, 72
v_mov_b32 v72, v120                                // temp store offset 0
v_mov_b32 v73, v121                                // temp store offset 1
v_cmp_lt_u32 s[38:39], v70, s[sgprSizesFree+0]     // coord0 < size0
v_cmp_lt_u32 s[40:41], v65, s[sgprSizesFree+1]     // coord1 < size1
s_and_b64 s[64:65], s[38:39], s[40:41]             // in0 && in1
_v_add_co_u32 v120, vcc, v66, v72                  // addrVgpr = D + index*bytes (lo)
_v_addc_co_u32 v121, vcc, v67, v73, vcc            // addrVgpr = D + index*bytes (hi)
/* (d1,vc1,d0,vc0)=(3,0,0,0) */
_v_add_co_u32 v65, vcc, v65, 4                     // coord1.1: coord1Vgpr += d1*sg1*VW + vc1
GLOBAL_OFFSET_D 124, 64, 65, sgprWorkGroup2, 72
v_mov_b32 v72, v124                                // temp store offset 0
v_mov_b32 v73, v125                                // temp store offset 1
v_cmp_lt_u32 s[38:39], v64, s[sgprSizesFree+0]     // coord0 < size0
v_cmp_lt_u32 s[40:41], v65, s[sgprSizesFree+1]     // coord1 < size1
s_and_b64 s[66:67], s[38:39], s[40:41]             // in0 && in1
_v_add_co_u32 v124, vcc, v66, v72                  // addrVgpr = D + index*bytes (lo)
_v_addc_co_u32 v125, vcc, v67, v73, vcc            // addrVgpr = D + index*bytes (hi)
/* (d1,vc1,d0,vc0)=(3,0,0,1) */
_v_add_co_u32 v70, vcc, v64, 1                     // coord0.1: coord0 += d0*sg0*VW + vc0
GLOBAL_OFFSET_D 128, 70, 65, sgprWorkGroup2, 72
v_mov_b32 v72, v128                                // temp store offset 0
v_mov_b32 v73, v129                                // temp store offset 1
v_cmp_lt_u32 s[38:39], v70, s[sgprSizesFree+0]     // coord0 < size0
v_cmp_lt_u32 s[40:41], v65, s[sgprSizesFree+1]     // coord1 < size1
s_and_b64 s[68:69], s[38:39], s[40:41]             // in0 && in1
_v_add_co_u32 v128, vcc, v66, v72                  // addrVgpr = D + index*bytes (lo)
_v_addc_co_u32 v129, vcc, v67, v73, vcc            // addrVgpr = D + index*bytes (hi)
/* (d1,vc1,d0,vc0)=(3,0,1,0) */
_v_add_co_u32 v70, vcc, v64, 32                    // coord0.1: coord0 += d0*sg0*VW + vc0
GLOBAL_OFFSET_D 132, 70, 65, sgprWorkGroup2, 72
v_mov_b32 v72, v132                                // temp store offset 0
v_mov_b32 v73, v133                                // temp store offset 1
v_cmp_lt_u32 s[38:39], v70, s[sgprSizesFree+0]     // coord0 < size0
v_cmp_lt_u32 s[40:41], v65, s[sgprSizesFree+1]     // coord1 < size1
s_and_b64 s[70:71], s[38:39], s[40:41]             // in0 && in1
_v_add_co_u32 v132, vcc, v66, v72                  // addrVgpr = D + index*bytes (lo)
_v_addc_co_u32 v133, vcc, v67, v73, vcc            // addrVgpr = D + index*bytes (hi)
/* (d1,vc1,d0,vc0)=(3,0,1,1) */
_v_add_co_u32 v70, vcc, v64, 33                    // coord0.1: coord0 += d0*sg0*VW + vc0
GLOBAL_OFFSET_D 136, 70, 65, sgprWorkGroup2, 72
v_mov_b32 v72, v136                                // temp store offset 0
v_mov_b32 v73, v137                                // temp store offset 1
v_cmp_lt_u32 s[38:39], v70, s[sgprSizesFree+0]     // coord0 < size0
v_cmp_lt_u32 s[40:41], v65, s[sgprSizesFree+1]     // coord1 < size1
s_and_b64 s[72:73], s[38:39], s[40:41]             // in0 && in1
_v_add_co_u32 v136, vcc, v66, v72                  // addrVgpr = D + index*bytes (lo)
_v_addc_co_u32 v137, vcc, v67, v73, vcc            // addrVgpr = D + index*bytes (hi)
/* (d1,vc1,d0,vc0)=(4,0,0,0) */
_v_add_co_u32 v65, vcc, v65, 52                    // coord1.1: coord1Vgpr += d1*sg1*VW + vc1
GLOBAL_OFFSET_D 140, 64, 65, sgprWorkGroup2, 72
v_mov_b32 v72, v140                                // temp store offset 0
v_mov_b32 v73, v141                                // temp store offset 1
v_cmp_lt_u32 s[38:39], v64, s[sgprSizesFree+0]     // coord0 < size0
v_cmp_lt_u32 s[40:41], v65, s[sgprSizesFree+1]     // coord1 < size1
s_and_b64 s[74:75], s[38:39], s[40:41]             // in0 && in1
_v_add_co_u32 v140, vcc, v66, v72                  // addrVgpr = D + index*bytes (lo)
_v_addc_co_u32 v141, vcc, v67, v73, vcc            // addrVgpr = D + index*bytes (hi)
/* (d1,vc1,d0,vc0)=(4,0,0,1) */
_v_add_co_u32 v70, vcc, v64, 1                     // coord0.1: coord0 += d0*sg0*VW + vc0
GLOBAL_OFFSET_D 144, 70, 65, sgprWorkGroup2, 72
v_mov_b32 v72, v144                                // temp store offset 0
v_mov_b32 v73, v145                                // temp store offset 1
v_cmp_lt_u32 s[38:39], v70, s[sgprSizesFree+0]     // coord0 < size0
v_cmp_lt_u32 s[40:41], v65, s[sgprSizesFree+1]     // coord1 < size1
s_and_b64 s[76:77], s[38:39], s[40:41]             // in0 && in1
_v_add_co_u32 v144, vcc, v66, v72                  // addrVgpr = D + index*bytes (lo)
_v_addc_co_u32 v145, vcc, v67, v73, vcc            // addrVgpr = D + index*bytes (hi)
/* (d1,vc1,d0,vc0)=(4,0,1,0) */
_v_add_co_u32 v70, vcc, v64, 32                    // coord0.1: coord0 += d0*sg0*VW + vc0
GLOBAL_OFFSET_D 148, 70, 65, sgprWorkGroup2, 72
v_mov_b32 v72, v148                                // temp store offset 0
v_mov_b32 v73, v149                                // temp store offset 1
v_cmp_lt_u32 s[38:39], v70, s[sgprSizesFree+0]     // coord0 < size0
v_cmp_lt_u32 s[40:41], v65, s[sgprSizesFree+1]     // coord1 < size1
s_and_b64 s[78:79], s[38:39], s[40:41]             // in0 && in1
_v_add_co_u32 v148, vcc, v66, v72                  // addrVgpr = D + index*bytes (lo)
_v_addc_co_u32 v149, vcc, v67, v73, vcc            // addrVgpr = D + index*bytes (hi)
/* (d1,vc1,d0,vc0)=(4,0,1,1) */
_v_add_co_u32 v70, vcc, v64, 33                    // coord0.1: coord0 += d0*sg0*VW + vc0
GLOBAL_OFFSET_D 152, 70, 65, sgprWorkGroup2, 72
v_mov_b32 v72, v152                                // temp store offset 0
v_mov_b32 v73, v153                                // temp store offset 1
v_cmp_lt_u32 s[38:39], v70, s[sgprSizesFree+0]     // coord0 < size0
v_cmp_lt_u32 s[40:41], v65, s[sgprSizesFree+1]     // coord1 < size1
s_and_b64 s[80:81], s[38:39], s[40:41]             // in0 && in1
_v_add_co_u32 v152, vcc, v66, v72                  // addrVgpr = D + index*bytes (lo)
_v_addc_co_u32 v153, vcc, v67, v73, vcc            // addrVgpr = D + index*bytes (hi)
/* (d1,vc1,d0,vc0)=(5,0,0,0) */
_v_add_co_u32 v65, vcc, v65, 4                     // coord1.1: coord1Vgpr += d1*sg1*VW + vc1
GLOBAL_OFFSET_D 160, 64, 65, sgprWorkGroup2, 72
v_mov_b32 v72, v160                                // temp store offset 0
v_mov_b32 v73, v161                                // temp store offset 1
v_cmp_lt_u32 s[38:39], v64, s[sgprSizesFree+0]     // coord0 < size0
v_cmp_lt_u32 s[40:41], v65, s[sgprSizesFree+1]     // coord1 < size1
s_and_b64 s[82:83], s[38:39], s[40:41]             // in0 && in1
_v_add_co_u32 v160, vcc, v66, v72                  // addrVgpr = D + index*bytes (lo)
_v_addc_co_u32 v161, vcc, v67, v73, vcc            // addrVgpr = D + index*bytes (hi)
/* (d1,vc1,d0,vc0)=(5,0,0,1) */
_v_add_co_u32 v70, vcc, v64, 1                     // coord0.1: coord0 += d0*sg0*VW + vc0
GLOBAL_OFFSET_D 164, 70, 65, sgprWorkGroup2, 72
v_mov_b32 v72, v164                                // temp store offset 0
v_mov_b32 v73, v165                                // temp store offset 1
v_cmp_lt_u32 s[38:39], v70, s[sgprSizesFree+0]     // coord0 < size0
v_cmp_lt_u32 s[40:41], v65, s[sgprSizesFree+1]     // coord1 < size1
s_and_b64 s[84:85], s[38:39], s[40:41]             // in0 && in1
_v_add_co_u32 v164, vcc, v66, v72                  // addrVgpr = D + index*bytes (lo)
_v_addc_co_u32 v165, vcc, v67, v73, vcc            // addrVgpr = D + index*bytes (hi)
/* (d1,vc1,d0,vc0)=(5,0,1,0) */
_v_add_co_u32 v70, vcc, v64, 32                    // coord0.1: coord0 += d0*sg0*VW + vc0
GLOBAL_OFFSET_D 168, 70, 65, sgprWorkGroup2, 72
v_mov_b32 v72, v168                                // temp store offset 0
v_mov_b32 v73, v169                                // temp store offset 1
v_cmp_lt_u32 s[38:39], v70, s[sgprSizesFree+0]     // coord0 < size0
v_cmp_lt_u32 s[40:41], v65, s[sgprSizesFree+1]     // coord1 < size1
s_and_b64 s[86:87], s[38:39], s[40:41]             // in0 && in1
_v_add_co_u32 v168, vcc, v66, v72                  // addrVgpr = D + index*bytes (lo)
_v_addc_co_u32 v169, vcc, v67, v73, vcc            // addrVgpr = D + index*bytes (hi)
/* (d1,vc1,d0,vc0)=(5,0,1,1) */
_v_add_co_u32 v70, vcc, v64, 33                    // coord0.1: coord0 += d0*sg0*VW + vc0
GLOBAL_OFFSET_D 172, 70, 65, sgprWorkGroup2, 72
v_mov_b32 v72, v172                                // temp store offset 0
v_mov_b32 v73, v173                                // temp store offset 1
v_cmp_lt_u32 s[38:39], v70, s[sgprSizesFree+0]     // coord0 < size0
v_cmp_lt_u32 s[40:41], v65, s[sgprSizesFree+1]     // coord1 < size1
s_and_b64 s[88:89], s[38:39], s[40:41]             // in0 && in1
_v_add_co_u32 v172, vcc, v66, v72                  // addrVgpr = D + index*bytes (lo)
_v_addc_co_u32 v173, vcc, v67, v73, vcc            // addrVgpr = D + index*bytes (hi)
/* (d1,vc1,d0,vc0)=(6,0,0,0) */
_v_add_co_u32 v65, vcc, v65, 4                     // coord1.1: coord1Vgpr += d1*sg1*VW + vc1
	;; [unrolled: 40-line block ×3, first 2 shown]
GLOBAL_OFFSET_D 192, 64, 65, sgprWorkGroup2, 72
v_mov_b32 v72, v192                                // temp store offset 0
v_mov_b32 v73, v193                                // temp store offset 1
v_cmp_lt_u32 s[38:39], v64, s[sgprSizesFree+0]     // coord0 < size0
v_cmp_lt_u32 s[40:41], v65, s[sgprSizesFree+1]     // coord1 < size1
s_and_b64 s[98:99], s[38:39], s[40:41]             // in0 && in1
_v_add_co_u32 v192, vcc, v66, v72                  // addrVgpr = D + index*bytes (lo)
_v_addc_co_u32 v193, vcc, v67, v73, vcc            // addrVgpr = D + index*bytes (hi)
/* (d1,vc1,d0,vc0)=(7,0,0,1) */
_v_add_co_u32 v70, vcc, v64, 1                     // coord0.1: coord0 += d0*sg0*VW + vc0
GLOBAL_OFFSET_D 196, 70, 65, sgprWorkGroup2, 72
v_mov_b32 v72, v196                                // temp store offset 0
v_mov_b32 v73, v197                                // temp store offset 1
v_cmp_lt_u32 s[38:39], v70, s[sgprSizesFree+0]     // coord0 < size0
v_cmp_lt_u32 s[40:41], v65, s[sgprSizesFree+1]     // coord1 < size1
s_and_b64 s[100:101], s[38:39], s[40:41]           // in0 && in1
_v_add_co_u32 v196, vcc, v66, v72                  // addrVgpr = D + index*bytes (lo)
_v_addc_co_u32 v197, vcc, v67, v73, vcc            // addrVgpr = D + index*bytes (hi)

/* rC *= alpha batchElements=[(0, 0, 0, 0), (0, 0, 0, 1), (0, 1, 0, 0), (0, 1, 0, 1), (1, 0, 0, 0), (1, 0, 0, 1), (1, 1, 0, 0), (1, 1, 0, 1), (2, 0, 0, 0), (2, 0, 0, 1), (2, 1, 0, 0), (2, 1, 0, 1), (3, 0, 0, 0), (3, 0, 0, 1), (3, 1, 0, 0), (3, 1, 0, 1), (4, 0, 0, 0), (4, 0, 0, 1), (4, 1, 0, 0), (4, 1, 0, 1), (5, 0, 0, 0), (5, 0, 0, 1), (5, 1, 0, 0), (5, 1, 0, 1), (6, 0, 0, 0), (6, 0, 0, 1), (6, 1, 0, 0), (6, 1, 0, 1), (7, 0, 0, 0), (7, 0, 0, 1)] */
v_mul_f64 v[vgprValuC+78:vgprValuC+78+1], s[sgprAlpha:sgprAlpha+1], v[vgprValuC+0:vgprValuC+0+1] // Multiply MI out reg with alpha
v_mul_f64 v[vgprValuC+82:vgprValuC+82+1], s[sgprAlpha:sgprAlpha+1], v[vgprValuC+8:vgprValuC+8+1] // Multiply MI out reg with alpha
	;; [unrolled: 1-line block ×30, first 2 shown]

/* apply mask, calc new C and issue writes */
s_mov_b64 exec, s[42:43]                           // sgprs -> exec
_global_store_b64 v[76:77], v[78:79], off,  sc0 sc1 // store D
s_mov_b64 exec, s[44:45]                           // sgprs -> exec
_global_store_b64 v[80:81], v[82:83], off,  sc0 sc1 // store D
	;; [unrolled: 2-line block ×29, first 2 shown]
s_mov_b64 exec, s[100:101]                         // sgprs -> exec
_global_store_b64 v[196:197], v[198:199], off,  sc0 sc1 // store D
s_mov_b64 exec, -1                                 // full mask -> exec
s_nop 0                                            // 1 wait state required when next inst writes vgprs held by previous dwordx4 store inst
/* optSingleColVgpr=0 optSharedColVgpr=0 optSGPRUsage=None optSrdIncForRow=0 */
s_sleep 7 // optimization: sync and wait
s_barrier

/******************************************/
/* Global Write Alpha Edge Batch #1 (d1,d0,vc1,vc0) = */
/*    (7,1,0,0:vw1); (7,1,0,1:vw1)        */
/******************************************/

/* calc coords, apply mask, and issue loads (if necessary) */
/* (d1,vc1,d0,vc0)=(7,0,1,0) */
_v_add_co_u32 v70, vcc, v64, 32                    // coord0.1: coord0 += d0*sg0*VW + vc0
GLOBAL_OFFSET_D 76, 70, 65, sgprWorkGroup2, 72
v_mov_b32 v72, v76                                 // temp store offset 0
v_mov_b32 v73, v77                                 // temp store offset 1
v_cmp_lt_u32 s[38:39], v70, s[sgprSizesFree+0]     // coord0 < size0
v_cmp_lt_u32 s[40:41], v65, s[sgprSizesFree+1]     // coord1 < size1
s_and_b64 s[42:43], s[38:39], s[40:41]             // in0 && in1
_v_add_co_u32 v76, vcc, v66, v72                   // addrVgpr = D + index*bytes (lo)
_v_addc_co_u32 v77, vcc, v67, v73, vcc             // addrVgpr = D + index*bytes (hi)
/* (d1,vc1,d0,vc0)=(7,0,1,1) */
_v_add_co_u32 v70, vcc, v64, 33                    // coord0.1: coord0 += d0*sg0*VW + vc0
GLOBAL_OFFSET_D 80, 70, 65, sgprWorkGroup2, 72
v_mov_b32 v72, v80                                 // temp store offset 0
v_mov_b32 v73, v81                                 // temp store offset 1
v_cmp_lt_u32 s[38:39], v70, s[sgprSizesFree+0]     // coord0 < size0
v_cmp_lt_u32 s[40:41], v65, s[sgprSizesFree+1]     // coord1 < size1
s_and_b64 s[44:45], s[38:39], s[40:41]             // in0 && in1
_v_add_co_u32 v80, vcc, v66, v72                   // addrVgpr = D + index*bytes (lo)
_v_addc_co_u32 v81, vcc, v67, v73, vcc             // addrVgpr = D + index*bytes (hi)

/* rC *= alpha batchElements=[(7, 1, 0, 0), (7, 1, 0, 1)] */
v_mul_f64 v[vgprValuC+78:vgprValuC+78+1], s[sgprAlpha:sgprAlpha+1], v[vgprValuC+54:vgprValuC+54+1] // Multiply MI out reg with alpha
v_mul_f64 v[vgprValuC+82:vgprValuC+82+1], s[sgprAlpha:sgprAlpha+1], v[vgprValuC+62:vgprValuC+62+1] // Multiply MI out reg with alpha

/* apply mask, calc new C and issue writes */
s_mov_b64 exec, s[42:43]                           // sgprs -> exec
_global_store_b64 v[76:77], v[78:79], off,  sc0 sc1 // store D
s_mov_b64 exec, s[44:45]                           // sgprs -> exec
_global_store_b64 v[80:81], v[82:83], off,  sc0 sc1 // store D
s_mov_b64 exec, -1                                 // full mask -> exec
s_nop 0                                            // 1 wait state required when next inst writes vgprs held by previous dwordx4 store inst
s_branch label_GW_End_32                           // jump to end
GW_Beta_33:
s_and_b32 s38, 63, s[sgprSizeI]                    // s38 = s[sgprSizeI] % 64
s_add_u32 s39, -0x1, s[sgprNumWorkGroups0]         // 
s_cmp_ge_u32 s[sgprWorkGroup0], s39                // wg0 >= nwg0-1 ?
s_cselect_b32 s38, s38, 0                          // set rMT0
s_cmpk_gt_u32 s38, 0x0                             // rMT0 > 0
s_cbranch_scc1 GW_B1_E1_31                         // jump if edges required
s_and_b32 s38, 127, s[sgprSizeJ]                   // s38 = s[sgprSizeJ] % 128
s_add_u32 s39, -0x1, s[sgprNumWorkGroups1]         // 
s_cmp_ge_u32 s[sgprWorkGroup1], s39                // wg1 >= nwg1-1
s_cselect_b32 s38, s38, 0                          // set rMT1
s_cmpk_gt_u32 s38, 0x0                             // rMT1 > 0
s_cbranch_scc1 GW_B1_E1_31                         // jump if edges required
GW_B1_E0_28:

/* edge=0, allocate 36 sgpr. perBatchTmpS=4 perBatchMaskS=0 perElementMaskS=2 elementsPerBatch=16 */
/* optSingleColVgpr=0 optSharedColVgpr=0 optSGPRUsage=None optSrdIncForRow=0 */
s_sleep 7 // optimization: sync and wait
s_barrier

/******************************************/
/* Global Write Alpha Beta Batch #0 (d1,d0,vc1,vc0) = */
/*    (0,0,0,0:vw2); (0,1,0,0:vw2); (1,0,0,0:vw2); (1,1,0,0:vw2); (2,0,0,0:vw2); (2,1,0,0:vw2); (3,0,0,0:vw2); (3,1,0,0:vw2); (4,0,0,0:vw2); (4,1,0,0:vw2); (5,0,0,0:vw2); (5,1,0,0:vw2); (6,0,0,0:vw2); (6,1,0,0:vw2); (7,0,0,0:vw2); (7,1,0,0:vw2) */
/******************************************/

/* calc coords, apply mask, and issue loads (if necessary) */

/* rC *= alpha batchElements=[(0, 0, 0, 0), (0, 1, 0, 0), (1, 0, 0, 0), (1, 1, 0, 0), (2, 0, 0, 0), (2, 1, 0, 0), (3, 0, 0, 0), (3, 1, 0, 0), (4, 0, 0, 0), (4, 1, 0, 0), (5, 0, 0, 0), (5, 1, 0, 0), (6, 0, 0, 0), (6, 1, 0, 0), (7, 0, 0, 0), (7, 1, 0, 0)] */
v_mul_f64 v[vgprValuC+84:vgprValuC+84+1], s[sgprAlpha:sgprAlpha+1], v[vgprValuC+0:vgprValuC+0+1] // Multiply MI out reg with alpha
v_mul_f64 v[vgprValuC+86:vgprValuC+86+1], s[sgprAlpha:sgprAlpha+1], v[vgprValuC+8:vgprValuC+8+1] // Multiply MI out reg with alpha
	;; [unrolled: 1-line block ×32, first 2 shown]
/* (d1,vc1,d0,vc0)=(0,0,0,0) */
GLOBAL_OFFSET_C 76, 64, 65, sgprWorkGroup2, 72
v_mov_b32 v72, v76                                 // temp store offset 0
v_mov_b32 v73, v77                                 // temp store offset 1
_v_add_co_u32 v76, vcc, v68, v72                   // addrVgpr = C + index*bytes (lo)
_v_addc_co_u32 v77, vcc, v69, v73, vcc             // addrVgpr = C + index*bytes (hi)
_global_load_b128 v[80:83], v[76:77], off, offset:0,  sc0 sc1 // load C for beta calc
GLOBAL_OFFSET_D 76, 64, 65, sgprWorkGroup2, 72
v_mov_b32 v72, v76                                 // temp store offset 0
v_mov_b32 v73, v77                                 // temp store offset 1
_v_add_co_u32 v76, vcc, v66, v72                   // addrVgpr = D + index*bytes (lo)
_v_addc_co_u32 v77, vcc, v67, v73, vcc             // addrVgpr = D + index*bytes (hi)
/* (d1,vc1,d0,vc0)=(0,0,1,0) */
_v_add_co_u32 v70, vcc, v64, 32                    // coord0.1: coord0 += d0*sg0*VW + vc0
GLOBAL_OFFSET_C 78, 70, 65, sgprWorkGroup2, 72
v_mov_b32 v72, v78                                 // temp store offset 0
v_mov_b32 v73, v79                                 // temp store offset 1
_v_add_co_u32 v78, vcc, v68, v72                   // addrVgpr = C + index*bytes (lo)
_v_addc_co_u32 v79, vcc, v69, v73, vcc             // addrVgpr = C + index*bytes (hi)
_global_load_b128 v[88:91], v[78:79], off, offset:0,  sc0 sc1 // load C for beta calc
GLOBAL_OFFSET_D 78, 70, 65, sgprWorkGroup2, 72
v_mov_b32 v72, v78                                 // temp store offset 0
v_mov_b32 v73, v79                                 // temp store offset 1
_v_add_co_u32 v78, vcc, v66, v72                   // addrVgpr = D + index*bytes (lo)
_v_addc_co_u32 v79, vcc, v67, v73, vcc             // addrVgpr = D + index*bytes (hi)
/* (d1,vc1,d0,vc0)=(1,0,0,0) */
_v_add_co_u32 v65, vcc, v65, 4                     // coord1.1: coord1Vgpr += d1*sg1*VW + vc1
GLOBAL_OFFSET_C 96, 64, 65, sgprWorkGroup2, 72
v_mov_b32 v72, v96                                 // temp store offset 0
v_mov_b32 v73, v97                                 // temp store offset 1
_v_add_co_u32 v96, vcc, v68, v72                   // addrVgpr = C + index*bytes (lo)
_v_addc_co_u32 v97, vcc, v69, v73, vcc             // addrVgpr = C + index*bytes (hi)
_global_load_b128 v[100:103], v[96:97], off, offset:0,  sc0 sc1 // load C for beta calc
GLOBAL_OFFSET_D 96, 64, 65, sgprWorkGroup2, 72
v_mov_b32 v72, v96                                 // temp store offset 0
v_mov_b32 v73, v97                                 // temp store offset 1
_v_add_co_u32 v96, vcc, v66, v72                   // addrVgpr = D + index*bytes (lo)
_v_addc_co_u32 v97, vcc, v67, v73, vcc             // addrVgpr = D + index*bytes (hi)
/* (d1,vc1,d0,vc0)=(1,0,1,0) */
_v_add_co_u32 v70, vcc, v64, 32                    // coord0.1: coord0 += d0*sg0*VW + vc0
GLOBAL_OFFSET_C 98, 70, 65, sgprWorkGroup2, 72
v_mov_b32 v72, v98                                 // temp store offset 0
v_mov_b32 v73, v99                                 // temp store offset 1
_v_add_co_u32 v98, vcc, v68, v72                   // addrVgpr = C + index*bytes (lo)
_v_addc_co_u32 v99, vcc, v69, v73, vcc             // addrVgpr = C + index*bytes (hi)
_global_load_b128 v[108:111], v[98:99], off, offset:0,  sc0 sc1 // load C for beta calc
GLOBAL_OFFSET_D 98, 70, 65, sgprWorkGroup2, 72
v_mov_b32 v72, v98                                 // temp store offset 0
v_mov_b32 v73, v99                                 // temp store offset 1
_v_add_co_u32 v98, vcc, v66, v72                   // addrVgpr = D + index*bytes (lo)
_v_addc_co_u32 v99, vcc, v67, v73, vcc             // addrVgpr = D + index*bytes (hi)
/* (d1,vc1,d0,vc0)=(2,0,0,0) */
_v_add_co_u32 v65, vcc, v65, 4                     // coord1.1: coord1Vgpr += d1*sg1*VW + vc1
GLOBAL_OFFSET_C 116, 64, 65, sgprWorkGroup2, 72
v_mov_b32 v72, v116                                // temp store offset 0
v_mov_b32 v73, v117                                // temp store offset 1
_v_add_co_u32 v116, vcc, v68, v72                  // addrVgpr = C + index*bytes (lo)
_v_addc_co_u32 v117, vcc, v69, v73, vcc            // addrVgpr = C + index*bytes (hi)
_global_load_b128 v[120:123], v[116:117], off, offset:0,  sc0 sc1 // load C for beta calc
GLOBAL_OFFSET_D 116, 64, 65, sgprWorkGroup2, 72
v_mov_b32 v72, v116                                // temp store offset 0
v_mov_b32 v73, v117                                // temp store offset 1
_v_add_co_u32 v116, vcc, v66, v72                  // addrVgpr = D + index*bytes (lo)
_v_addc_co_u32 v117, vcc, v67, v73, vcc            // addrVgpr = D + index*bytes (hi)
/* (d1,vc1,d0,vc0)=(2,0,1,0) */
_v_add_co_u32 v70, vcc, v64, 32                    // coord0.1: coord0 += d0*sg0*VW + vc0
GLOBAL_OFFSET_C 118, 70, 65, sgprWorkGroup2, 72
v_mov_b32 v72, v118                                // temp store offset 0
v_mov_b32 v73, v119                                // temp store offset 1
_v_add_co_u32 v118, vcc, v68, v72                  // addrVgpr = C + index*bytes (lo)
_v_addc_co_u32 v119, vcc, v69, v73, vcc            // addrVgpr = C + index*bytes (hi)
_global_load_b128 v[128:131], v[118:119], off, offset:0,  sc0 sc1 // load C for beta calc
GLOBAL_OFFSET_D 118, 70, 65, sgprWorkGroup2, 72
v_mov_b32 v72, v118                                // temp store offset 0
v_mov_b32 v73, v119                                // temp store offset 1
_v_add_co_u32 v118, vcc, v66, v72                  // addrVgpr = D + index*bytes (lo)
_v_addc_co_u32 v119, vcc, v67, v73, vcc            // addrVgpr = D + index*bytes (hi)
/* (d1,vc1,d0,vc0)=(3,0,0,0) */
_v_add_co_u32 v65, vcc, v65, 4                     // coord1.1: coord1Vgpr += d1*sg1*VW + vc1
GLOBAL_OFFSET_C 136, 64, 65, sgprWorkGroup2, 72
v_mov_b32 v72, v136                                // temp store offset 0
v_mov_b32 v73, v137                                // temp store offset 1
_v_add_co_u32 v136, vcc, v68, v72                  // addrVgpr = C + index*bytes (lo)
_v_addc_co_u32 v137, vcc, v69, v73, vcc            // addrVgpr = C + index*bytes (hi)
_global_load_b128 v[140:143], v[136:137], off, offset:0,  sc0 sc1 // load C for beta calc
GLOBAL_OFFSET_D 136, 64, 65, sgprWorkGroup2, 72
v_mov_b32 v72, v136                                // temp store offset 0
v_mov_b32 v73, v137                                // temp store offset 1
_v_add_co_u32 v136, vcc, v66, v72                  // addrVgpr = D + index*bytes (lo)
_v_addc_co_u32 v137, vcc, v67, v73, vcc            // addrVgpr = D + index*bytes (hi)
/* (d1,vc1,d0,vc0)=(3,0,1,0) */
_v_add_co_u32 v70, vcc, v64, 32                    // coord0.1: coord0 += d0*sg0*VW + vc0
GLOBAL_OFFSET_C 138, 70, 65, sgprWorkGroup2, 72
v_mov_b32 v72, v138                                // temp store offset 0
v_mov_b32 v73, v139                                // temp store offset 1
_v_add_co_u32 v138, vcc, v68, v72                  // addrVgpr = C + index*bytes (lo)
_v_addc_co_u32 v139, vcc, v69, v73, vcc            // addrVgpr = C + index*bytes (hi)
_global_load_b128 v[148:151], v[138:139], off, offset:0,  sc0 sc1 // load C for beta calc
GLOBAL_OFFSET_D 138, 70, 65, sgprWorkGroup2, 72
v_mov_b32 v72, v138                                // temp store offset 0
v_mov_b32 v73, v139                                // temp store offset 1
_v_add_co_u32 v138, vcc, v66, v72                  // addrVgpr = D + index*bytes (lo)
_v_addc_co_u32 v139, vcc, v67, v73, vcc            // addrVgpr = D + index*bytes (hi)
/* (d1,vc1,d0,vc0)=(4,0,0,0) */
_v_add_co_u32 v65, vcc, v65, 52                    // coord1.1: coord1Vgpr += d1*sg1*VW + vc1
GLOBAL_OFFSET_C 152, 64, 65, sgprWorkGroup2, 72
v_mov_b32 v72, v152                                // temp store offset 0
v_mov_b32 v73, v153                                // temp store offset 1
_v_add_co_u32 v152, vcc, v68, v72                  // addrVgpr = C + index*bytes (lo)
_v_addc_co_u32 v153, vcc, v69, v73, vcc            // addrVgpr = C + index*bytes (hi)
_global_load_b128 v[164:167], v[152:153], off, offset:0,  sc0 sc1 // load C for beta calc
GLOBAL_OFFSET_D 152, 64, 65, sgprWorkGroup2, 72
v_mov_b32 v72, v152                                // temp store offset 0
v_mov_b32 v73, v153                                // temp store offset 1
_v_add_co_u32 v152, vcc, v66, v72                  // addrVgpr = D + index*bytes (lo)
_v_addc_co_u32 v153, vcc, v67, v73, vcc            // addrVgpr = D + index*bytes (hi)
/* (d1,vc1,d0,vc0)=(4,0,1,0) */
_v_add_co_u32 v70, vcc, v64, 32                    // coord0.1: coord0 += d0*sg0*VW + vc0
GLOBAL_OFFSET_C 158, 70, 65, sgprWorkGroup2, 72
v_mov_b32 v72, v158                                // temp store offset 0
v_mov_b32 v73, v159                                // temp store offset 1
_v_add_co_u32 v158, vcc, v68, v72                  // addrVgpr = C + index*bytes (lo)
_v_addc_co_u32 v159, vcc, v69, v73, vcc            // addrVgpr = C + index*bytes (hi)
_global_load_b128 v[172:175], v[158:159], off, offset:0,  sc0 sc1 // load C for beta calc
GLOBAL_OFFSET_D 158, 70, 65, sgprWorkGroup2, 72
v_mov_b32 v72, v158                                // temp store offset 0
v_mov_b32 v73, v159                                // temp store offset 1
_v_add_co_u32 v158, vcc, v66, v72                  // addrVgpr = D + index*bytes (lo)
_v_addc_co_u32 v159, vcc, v67, v73, vcc            // addrVgpr = D + index*bytes (hi)
/* (d1,vc1,d0,vc0)=(5,0,0,0) */
_v_add_co_u32 v65, vcc, v65, 4                     // coord1.1: coord1Vgpr += d1*sg1*VW + vc1
GLOBAL_OFFSET_C 180, 64, 65, sgprWorkGroup2, 72
v_mov_b32 v72, v180                                // temp store offset 0
v_mov_b32 v73, v181                                // temp store offset 1
_v_add_co_u32 v180, vcc, v68, v72                  // addrVgpr = C + index*bytes (lo)
_v_addc_co_u32 v181, vcc, v69, v73, vcc            // addrVgpr = C + index*bytes (hi)
_global_load_b128 v[184:187], v[180:181], off, offset:0,  sc0 sc1 // load C for beta calc
GLOBAL_OFFSET_D 180, 64, 65, sgprWorkGroup2, 72
v_mov_b32 v72, v180                                // temp store offset 0
v_mov_b32 v73, v181                                // temp store offset 1
_v_add_co_u32 v180, vcc, v66, v72                  // addrVgpr = D + index*bytes (lo)
_v_addc_co_u32 v181, vcc, v67, v73, vcc            // addrVgpr = D + index*bytes (hi)
/* (d1,vc1,d0,vc0)=(5,0,1,0) */
_v_add_co_u32 v70, vcc, v64, 32                    // coord0.1: coord0 += d0*sg0*VW + vc0
GLOBAL_OFFSET_C 182, 70, 65, sgprWorkGroup2, 72
v_mov_b32 v72, v182                                // temp store offset 0
v_mov_b32 v73, v183                                // temp store offset 1
_v_add_co_u32 v182, vcc, v68, v72                  // addrVgpr = C + index*bytes (lo)
_v_addc_co_u32 v183, vcc, v69, v73, vcc            // addrVgpr = C + index*bytes (hi)
_global_load_b128 v[192:195], v[182:183], off, offset:0,  sc0 sc1 // load C for beta calc
GLOBAL_OFFSET_D 182, 70, 65, sgprWorkGroup2, 72
v_mov_b32 v72, v182                                // temp store offset 0
v_mov_b32 v73, v183                                // temp store offset 1
_v_add_co_u32 v182, vcc, v66, v72                  // addrVgpr = D + index*bytes (lo)
_v_addc_co_u32 v183, vcc, v67, v73, vcc            // addrVgpr = D + index*bytes (hi)
/* (d1,vc1,d0,vc0)=(6,0,0,0) */
_v_add_co_u32 v65, vcc, v65, 4                     // coord1.1: coord1Vgpr += d1*sg1*VW + vc1
	;; [unrolled: 26-line block ×3, first 2 shown]
GLOBAL_OFFSET_C 220, 64, 65, sgprWorkGroup2, 72
v_mov_b32 v72, v220                                // temp store offset 0
v_mov_b32 v73, v221                                // temp store offset 1
_v_add_co_u32 v220, vcc, v68, v72                  // addrVgpr = C + index*bytes (lo)
_v_addc_co_u32 v221, vcc, v69, v73, vcc            // addrVgpr = C + index*bytes (hi)
_global_load_b128 v[224:227], v[220:221], off, offset:0,  sc0 sc1 // load C for beta calc
GLOBAL_OFFSET_D 220, 64, 65, sgprWorkGroup2, 72
v_mov_b32 v72, v220                                // temp store offset 0
v_mov_b32 v73, v221                                // temp store offset 1
_v_add_co_u32 v220, vcc, v66, v72                  // addrVgpr = D + index*bytes (lo)
_v_addc_co_u32 v221, vcc, v67, v73, vcc            // addrVgpr = D + index*bytes (hi)
/* (d1,vc1,d0,vc0)=(7,0,1,0) */
_v_add_co_u32 v70, vcc, v64, 32                    // coord0.1: coord0 += d0*sg0*VW + vc0
GLOBAL_OFFSET_C 222, 70, 65, sgprWorkGroup2, 72
v_mov_b32 v72, v222                                // temp store offset 0
v_mov_b32 v73, v223                                // temp store offset 1
_v_add_co_u32 v222, vcc, v68, v72                  // addrVgpr = C + index*bytes (lo)
_v_addc_co_u32 v223, vcc, v69, v73, vcc            // addrVgpr = C + index*bytes (hi)
_global_load_b128 v[232:235], v[222:223], off, offset:0,  sc0 sc1 // load C for beta calc
GLOBAL_OFFSET_D 222, 70, 65, sgprWorkGroup2, 72
v_mov_b32 v72, v222                                // temp store offset 0
v_mov_b32 v73, v223                                // temp store offset 1
_v_add_co_u32 v222, vcc, v66, v72                  // addrVgpr = D + index*bytes (lo)
_v_addc_co_u32 v223, vcc, v67, v73, vcc            // addrVgpr = D + index*bytes (hi)
s_sleep 7 // optimization: sync and wait
s_barrier
s_waitcnt vmcnt(0)                                 // wait C

/* apply mask, calc new C and issue writes */
v_fma_f64 v[vgprValuC+84:vgprValuC+84+1], v[80:81], s[sgprBeta:sgprBeta+1], v[vgprValuC+84:vgprValuC+84+1] // finalSum = sum*alpha + C*beta
v_fma_f64 v[vgprValuC+86:vgprValuC+86+1], v[82:83], s[sgprBeta:sgprBeta+1], v[vgprValuC+86:vgprValuC+86+1] // finalSum = sum*alpha + C*beta
_global_store_b128 v[76:77], v[84:87], off,  sc0 sc1 // store D
v_fma_f64 v[vgprValuC+92:vgprValuC+92+1], v[88:89], s[sgprBeta:sgprBeta+1], v[vgprValuC+92:vgprValuC+92+1] // finalSum = sum*alpha + C*beta
v_fma_f64 v[vgprValuC+94:vgprValuC+94+1], v[90:91], s[sgprBeta:sgprBeta+1], v[vgprValuC+94:vgprValuC+94+1] // finalSum = sum*alpha + C*beta
_global_store_b128 v[78:79], v[92:95], off,  sc0 sc1 // store D
	;; [unrolled: 3-line block ×16, first 2 shown]
s_nop 0                                            // 1 wait state required when next inst writes vgprs held by previous dwordx4 store inst
s_branch label_GW_End_32                           // jump to end
GW_B1_E1_31:

/* edge=1, allocate 62 sgpr. perBatchTmpS=4 perBatchMaskS=0 perElementMaskS=2 elementsPerBatch=29 */
/* optSingleColVgpr=0 optSharedColVgpr=0 optSGPRUsage=None optSrdIncForRow=0 */
s_sleep 7 // optimization: sync and wait
s_barrier

/******************************************/
/* Global Write Alpha Beta Edge Batch #0 (d1,d0,vc1,vc0) = */
/*    (0,0,0,0:vw1); (0,0,0,1:vw1); (0,1,0,0:vw1); (0,1,0,1:vw1); (1,0,0,0:vw1); (1,0,0,1:vw1); (1,1,0,0:vw1); (1,1,0,1:vw1); (2,0,0,0:vw1); (2,0,0,1:vw1); (2,1,0,0:vw1); (2,1,0,1:vw1); (3,0,0,0:vw1); (3,0,0,1:vw1); (3,1,0,0:vw1); (3,1,0,1:vw1); (4,0,0,0:vw1); (4,0,0,1:vw1); (4,1,0,0:vw1); (4,1,0,1:vw1); (5,0,0,0:vw1); (5,0,0,1:vw1); (5,1,0,0:vw1); (5,1,0,1:vw1); (6,0,0,0:vw1); (6,0,0,1:vw1); (6,1,0,0:vw1); (6,1,0,1:vw1); (7,0,0,0:vw1) */
/******************************************/

/* calc coords, apply mask, and issue loads (if necessary) */

/* rC *= alpha batchElements=[(0, 0, 0, 0), (0, 0, 0, 1), (0, 1, 0, 0), (0, 1, 0, 1), (1, 0, 0, 0), (1, 0, 0, 1), (1, 1, 0, 0), (1, 1, 0, 1), (2, 0, 0, 0), (2, 0, 0, 1), (2, 1, 0, 0), (2, 1, 0, 1), (3, 0, 0, 0), (3, 0, 0, 1), (3, 1, 0, 0), (3, 1, 0, 1), (4, 0, 0, 0), (4, 0, 0, 1), (4, 1, 0, 0), (4, 1, 0, 1), (5, 0, 0, 0), (5, 0, 0, 1), (5, 1, 0, 0), (5, 1, 0, 1), (6, 0, 0, 0), (6, 0, 0, 1), (6, 1, 0, 0), (6, 1, 0, 1), (7, 0, 0, 0)] */
v_mul_f64 v[vgprValuC+80:vgprValuC+80+1], s[sgprAlpha:sgprAlpha+1], v[vgprValuC+0:vgprValuC+0+1] // Multiply MI out reg with alpha
v_mul_f64 v[vgprValuC+86:vgprValuC+86+1], s[sgprAlpha:sgprAlpha+1], v[vgprValuC+8:vgprValuC+8+1] // Multiply MI out reg with alpha
	;; [unrolled: 1-line block ×29, first 2 shown]
/* (d1,vc1,d0,vc0)=(0,0,0,0) */
GLOBAL_OFFSET_C 76, 64, 65, sgprWorkGroup2, 72
v_mov_b32 v72, v76                                 // temp store offset 0
v_mov_b32 v73, v77                                 // temp store offset 1
v_cmp_lt_u32 s[38:39], v64, s[sgprSizesFree+0]     // coord0 < size0
v_cmp_lt_u32 s[40:41], v65, s[sgprSizesFree+1]     // coord1 < size1
s_and_b64 s[42:43], s[38:39], s[40:41]             // in0 && in1
s_mov_b64 exec, s[42:43]                           // sgprs -> exec
_v_add_co_u32 v76, vcc, v68, v72                   // addrVgpr = C + index*bytes (lo)
_v_addc_co_u32 v77, vcc, v69, v73, vcc             // addrVgpr = C + index*bytes (hi)
_global_load_b64 v[78:79], v[76:77], off, offset:0,  sc0 sc1 // load C for beta calc
GLOBAL_OFFSET_D 76, 64, 65, sgprWorkGroup2, 72
v_mov_b32 v72, v76                                 // temp store offset 0
v_mov_b32 v73, v77                                 // temp store offset 1
v_cmp_lt_u32 s[38:39], v64, s[sgprSizesFree+0]     // coord0 < size0
v_cmp_lt_u32 s[40:41], v65, s[sgprSizesFree+1]     // coord1 < size1
s_and_b64 s[42:43], s[38:39], s[40:41]             // in0 && in1
s_mov_b64 exec, s[42:43]                           // sgprs -> exec
_v_add_co_u32 v76, vcc, v66, v72                   // addrVgpr = D + index*bytes (lo)
_v_addc_co_u32 v77, vcc, v67, v73, vcc             // addrVgpr = D + index*bytes (hi)
s_mov_b64 exec, -1                                 // full mask -1 -> exec
/* (d1,vc1,d0,vc0)=(0,0,0,1) */
_v_add_co_u32 v70, vcc, v64, 1                     // coord0.1: coord0 += d0*sg0*VW + vc0
GLOBAL_OFFSET_C 82, 70, 65, sgprWorkGroup2, 72
v_mov_b32 v72, v82                                 // temp store offset 0
v_mov_b32 v73, v83                                 // temp store offset 1
v_cmp_lt_u32 s[38:39], v70, s[sgprSizesFree+0]     // coord0 < size0
v_cmp_lt_u32 s[40:41], v65, s[sgprSizesFree+1]     // coord1 < size1
s_and_b64 s[44:45], s[38:39], s[40:41]             // in0 && in1
s_mov_b64 exec, s[44:45]                           // sgprs -> exec
_v_add_co_u32 v82, vcc, v68, v72                   // addrVgpr = C + index*bytes (lo)
_v_addc_co_u32 v83, vcc, v69, v73, vcc             // addrVgpr = C + index*bytes (hi)
_global_load_b64 v[84:85], v[82:83], off, offset:0,  sc0 sc1 // load C for beta calc
GLOBAL_OFFSET_D 82, 70, 65, sgprWorkGroup2, 72
v_mov_b32 v72, v82                                 // temp store offset 0
v_mov_b32 v73, v83                                 // temp store offset 1
v_cmp_lt_u32 s[38:39], v70, s[sgprSizesFree+0]     // coord0 < size0
v_cmp_lt_u32 s[40:41], v65, s[sgprSizesFree+1]     // coord1 < size1
s_and_b64 s[44:45], s[38:39], s[40:41]             // in0 && in1
s_mov_b64 exec, s[44:45]                           // sgprs -> exec
_v_add_co_u32 v82, vcc, v66, v72                   // addrVgpr = D + index*bytes (lo)
_v_addc_co_u32 v83, vcc, v67, v73, vcc             // addrVgpr = D + index*bytes (hi)
s_mov_b64 exec, -1                                 // full mask -1 -> exec
/* (d1,vc1,d0,vc0)=(0,0,1,0) */
_v_add_co_u32 v70, vcc, v64, 32                    // coord0.1: coord0 += d0*sg0*VW + vc0
GLOBAL_OFFSET_C 88, 70, 65, sgprWorkGroup2, 72
v_mov_b32 v72, v88                                 // temp store offset 0
v_mov_b32 v73, v89                                 // temp store offset 1
v_cmp_lt_u32 s[38:39], v70, s[sgprSizesFree+0]     // coord0 < size0
v_cmp_lt_u32 s[40:41], v65, s[sgprSizesFree+1]     // coord1 < size1
s_and_b64 s[46:47], s[38:39], s[40:41]             // in0 && in1
s_mov_b64 exec, s[46:47]                           // sgprs -> exec
_v_add_co_u32 v88, vcc, v68, v72                   // addrVgpr = C + index*bytes (lo)
_v_addc_co_u32 v89, vcc, v69, v73, vcc             // addrVgpr = C + index*bytes (hi)
_global_load_b64 v[90:91], v[88:89], off, offset:0,  sc0 sc1 // load C for beta calc
GLOBAL_OFFSET_D 88, 70, 65, sgprWorkGroup2, 72
v_mov_b32 v72, v88                                 // temp store offset 0
v_mov_b32 v73, v89                                 // temp store offset 1
v_cmp_lt_u32 s[38:39], v70, s[sgprSizesFree+0]     // coord0 < size0
v_cmp_lt_u32 s[40:41], v65, s[sgprSizesFree+1]     // coord1 < size1
s_and_b64 s[46:47], s[38:39], s[40:41]             // in0 && in1
s_mov_b64 exec, s[46:47]                           // sgprs -> exec
_v_add_co_u32 v88, vcc, v66, v72                   // addrVgpr = D + index*bytes (lo)
_v_addc_co_u32 v89, vcc, v67, v73, vcc             // addrVgpr = D + index*bytes (hi)
s_mov_b64 exec, -1                                 // full mask -1 -> exec
/* (d1,vc1,d0,vc0)=(0,0,1,1) */
_v_add_co_u32 v70, vcc, v64, 33                    // coord0.1: coord0 += d0*sg0*VW + vc0
GLOBAL_OFFSET_C 94, 70, 65, sgprWorkGroup2, 72
v_mov_b32 v72, v94                                 // temp store offset 0
v_mov_b32 v73, v95                                 // temp store offset 1
v_cmp_lt_u32 s[38:39], v70, s[sgprSizesFree+0]     // coord0 < size0
v_cmp_lt_u32 s[40:41], v65, s[sgprSizesFree+1]     // coord1 < size1
s_and_b64 s[48:49], s[38:39], s[40:41]             // in0 && in1
s_mov_b64 exec, s[48:49]                           // sgprs -> exec
_v_add_co_u32 v94, vcc, v68, v72                   // addrVgpr = C + index*bytes (lo)
_v_addc_co_u32 v95, vcc, v69, v73, vcc             // addrVgpr = C + index*bytes (hi)
_global_load_b64 v[96:97], v[94:95], off, offset:0,  sc0 sc1 // load C for beta calc
GLOBAL_OFFSET_D 94, 70, 65, sgprWorkGroup2, 72
v_mov_b32 v72, v94                                 // temp store offset 0
v_mov_b32 v73, v95                                 // temp store offset 1
v_cmp_lt_u32 s[38:39], v70, s[sgprSizesFree+0]     // coord0 < size0
v_cmp_lt_u32 s[40:41], v65, s[sgprSizesFree+1]     // coord1 < size1
s_and_b64 s[48:49], s[38:39], s[40:41]             // in0 && in1
s_mov_b64 exec, s[48:49]                           // sgprs -> exec
_v_add_co_u32 v94, vcc, v66, v72                   // addrVgpr = D + index*bytes (lo)
_v_addc_co_u32 v95, vcc, v67, v73, vcc             // addrVgpr = D + index*bytes (hi)
s_mov_b64 exec, -1                                 // full mask -1 -> exec
/* (d1,vc1,d0,vc0)=(1,0,0,0) */
_v_add_co_u32 v65, vcc, v65, 4                     // coord1.1: coord1Vgpr += d1*sg1*VW + vc1
GLOBAL_OFFSET_C 100, 64, 65, sgprWorkGroup2, 72
v_mov_b32 v72, v100                                // temp store offset 0
v_mov_b32 v73, v101                                // temp store offset 1
v_cmp_lt_u32 s[38:39], v64, s[sgprSizesFree+0]     // coord0 < size0
v_cmp_lt_u32 s[40:41], v65, s[sgprSizesFree+1]     // coord1 < size1
s_and_b64 s[50:51], s[38:39], s[40:41]             // in0 && in1
s_mov_b64 exec, s[50:51]                           // sgprs -> exec
_v_add_co_u32 v100, vcc, v68, v72                  // addrVgpr = C + index*bytes (lo)
_v_addc_co_u32 v101, vcc, v69, v73, vcc            // addrVgpr = C + index*bytes (hi)
_global_load_b64 v[102:103], v[100:101], off, offset:0,  sc0 sc1 // load C for beta calc
GLOBAL_OFFSET_D 100, 64, 65, sgprWorkGroup2, 72
v_mov_b32 v72, v100                                // temp store offset 0
v_mov_b32 v73, v101                                // temp store offset 1
v_cmp_lt_u32 s[38:39], v64, s[sgprSizesFree+0]     // coord0 < size0
v_cmp_lt_u32 s[40:41], v65, s[sgprSizesFree+1]     // coord1 < size1
s_and_b64 s[50:51], s[38:39], s[40:41]             // in0 && in1
s_mov_b64 exec, s[50:51]                           // sgprs -> exec
_v_add_co_u32 v100, vcc, v66, v72                  // addrVgpr = D + index*bytes (lo)
_v_addc_co_u32 v101, vcc, v67, v73, vcc            // addrVgpr = D + index*bytes (hi)
s_mov_b64 exec, -1                                 // full mask -1 -> exec
/* (d1,vc1,d0,vc0)=(1,0,0,1) */
_v_add_co_u32 v70, vcc, v64, 1                     // coord0.1: coord0 += d0*sg0*VW + vc0
GLOBAL_OFFSET_C 106, 70, 65, sgprWorkGroup2, 72
v_mov_b32 v72, v106                                // temp store offset 0
v_mov_b32 v73, v107                                // temp store offset 1
v_cmp_lt_u32 s[38:39], v70, s[sgprSizesFree+0]     // coord0 < size0
v_cmp_lt_u32 s[40:41], v65, s[sgprSizesFree+1]     // coord1 < size1
s_and_b64 s[52:53], s[38:39], s[40:41]             // in0 && in1
s_mov_b64 exec, s[52:53]                           // sgprs -> exec
_v_add_co_u32 v106, vcc, v68, v72                  // addrVgpr = C + index*bytes (lo)
_v_addc_co_u32 v107, vcc, v69, v73, vcc            // addrVgpr = C + index*bytes (hi)
_global_load_b64 v[108:109], v[106:107], off, offset:0,  sc0 sc1 // load C for beta calc
GLOBAL_OFFSET_D 106, 70, 65, sgprWorkGroup2, 72
v_mov_b32 v72, v106                                // temp store offset 0
v_mov_b32 v73, v107                                // temp store offset 1
v_cmp_lt_u32 s[38:39], v70, s[sgprSizesFree+0]     // coord0 < size0
v_cmp_lt_u32 s[40:41], v65, s[sgprSizesFree+1]     // coord1 < size1
s_and_b64 s[52:53], s[38:39], s[40:41]             // in0 && in1
s_mov_b64 exec, s[52:53]                           // sgprs -> exec
_v_add_co_u32 v106, vcc, v66, v72                  // addrVgpr = D + index*bytes (lo)
_v_addc_co_u32 v107, vcc, v67, v73, vcc            // addrVgpr = D + index*bytes (hi)
s_mov_b64 exec, -1                                 // full mask -1 -> exec
/* (d1,vc1,d0,vc0)=(1,0,1,0) */
_v_add_co_u32 v70, vcc, v64, 32                    // coord0.1: coord0 += d0*sg0*VW + vc0
GLOBAL_OFFSET_C 112, 70, 65, sgprWorkGroup2, 72
v_mov_b32 v72, v112                                // temp store offset 0
v_mov_b32 v73, v113                                // temp store offset 1
v_cmp_lt_u32 s[38:39], v70, s[sgprSizesFree+0]     // coord0 < size0
v_cmp_lt_u32 s[40:41], v65, s[sgprSizesFree+1]     // coord1 < size1
s_and_b64 s[54:55], s[38:39], s[40:41]             // in0 && in1
s_mov_b64 exec, s[54:55]                           // sgprs -> exec
_v_add_co_u32 v112, vcc, v68, v72                  // addrVgpr = C + index*bytes (lo)
_v_addc_co_u32 v113, vcc, v69, v73, vcc            // addrVgpr = C + index*bytes (hi)
_global_load_b64 v[114:115], v[112:113], off, offset:0,  sc0 sc1 // load C for beta calc
GLOBAL_OFFSET_D 112, 70, 65, sgprWorkGroup2, 72
v_mov_b32 v72, v112                                // temp store offset 0
v_mov_b32 v73, v113                                // temp store offset 1
v_cmp_lt_u32 s[38:39], v70, s[sgprSizesFree+0]     // coord0 < size0
v_cmp_lt_u32 s[40:41], v65, s[sgprSizesFree+1]     // coord1 < size1
s_and_b64 s[54:55], s[38:39], s[40:41]             // in0 && in1
s_mov_b64 exec, s[54:55]                           // sgprs -> exec
_v_add_co_u32 v112, vcc, v66, v72                  // addrVgpr = D + index*bytes (lo)
_v_addc_co_u32 v113, vcc, v67, v73, vcc            // addrVgpr = D + index*bytes (hi)
s_mov_b64 exec, -1                                 // full mask -1 -> exec
/* (d1,vc1,d0,vc0)=(1,0,1,1) */
_v_add_co_u32 v70, vcc, v64, 33                    // coord0.1: coord0 += d0*sg0*VW + vc0
GLOBAL_OFFSET_C 118, 70, 65, sgprWorkGroup2, 72
v_mov_b32 v72, v118                                // temp store offset 0
v_mov_b32 v73, v119                                // temp store offset 1
v_cmp_lt_u32 s[38:39], v70, s[sgprSizesFree+0]     // coord0 < size0
v_cmp_lt_u32 s[40:41], v65, s[sgprSizesFree+1]     // coord1 < size1
s_and_b64 s[56:57], s[38:39], s[40:41]             // in0 && in1
s_mov_b64 exec, s[56:57]                           // sgprs -> exec
_v_add_co_u32 v118, vcc, v68, v72                  // addrVgpr = C + index*bytes (lo)
_v_addc_co_u32 v119, vcc, v69, v73, vcc            // addrVgpr = C + index*bytes (hi)
_global_load_b64 v[120:121], v[118:119], off, offset:0,  sc0 sc1 // load C for beta calc
GLOBAL_OFFSET_D 118, 70, 65, sgprWorkGroup2, 72
v_mov_b32 v72, v118                                // temp store offset 0
v_mov_b32 v73, v119                                // temp store offset 1
v_cmp_lt_u32 s[38:39], v70, s[sgprSizesFree+0]     // coord0 < size0
v_cmp_lt_u32 s[40:41], v65, s[sgprSizesFree+1]     // coord1 < size1
s_and_b64 s[56:57], s[38:39], s[40:41]             // in0 && in1
s_mov_b64 exec, s[56:57]                           // sgprs -> exec
_v_add_co_u32 v118, vcc, v66, v72                  // addrVgpr = D + index*bytes (lo)
_v_addc_co_u32 v119, vcc, v67, v73, vcc            // addrVgpr = D + index*bytes (hi)
s_mov_b64 exec, -1                                 // full mask -1 -> exec
/* (d1,vc1,d0,vc0)=(2,0,0,0) */
_v_add_co_u32 v65, vcc, v65, 4                     // coord1.1: coord1Vgpr += d1*sg1*VW + vc1
GLOBAL_OFFSET_C 124, 64, 65, sgprWorkGroup2, 72
v_mov_b32 v72, v124                                // temp store offset 0
v_mov_b32 v73, v125                                // temp store offset 1
v_cmp_lt_u32 s[38:39], v64, s[sgprSizesFree+0]     // coord0 < size0
v_cmp_lt_u32 s[40:41], v65, s[sgprSizesFree+1]     // coord1 < size1
s_and_b64 s[58:59], s[38:39], s[40:41]             // in0 && in1
s_mov_b64 exec, s[58:59]                           // sgprs -> exec
_v_add_co_u32 v124, vcc, v68, v72                  // addrVgpr = C + index*bytes (lo)
_v_addc_co_u32 v125, vcc, v69, v73, vcc            // addrVgpr = C + index*bytes (hi)
_global_load_b64 v[126:127], v[124:125], off, offset:0,  sc0 sc1 // load C for beta calc
GLOBAL_OFFSET_D 124, 64, 65, sgprWorkGroup2, 72
v_mov_b32 v72, v124                                // temp store offset 0
v_mov_b32 v73, v125                                // temp store offset 1
v_cmp_lt_u32 s[38:39], v64, s[sgprSizesFree+0]     // coord0 < size0
v_cmp_lt_u32 s[40:41], v65, s[sgprSizesFree+1]     // coord1 < size1
s_and_b64 s[58:59], s[38:39], s[40:41]             // in0 && in1
s_mov_b64 exec, s[58:59]                           // sgprs -> exec
_v_add_co_u32 v124, vcc, v66, v72                  // addrVgpr = D + index*bytes (lo)
_v_addc_co_u32 v125, vcc, v67, v73, vcc            // addrVgpr = D + index*bytes (hi)
s_mov_b64 exec, -1                                 // full mask -1 -> exec
/* (d1,vc1,d0,vc0)=(2,0,0,1) */
_v_add_co_u32 v70, vcc, v64, 1                     // coord0.1: coord0 += d0*sg0*VW + vc0
GLOBAL_OFFSET_C 130, 70, 65, sgprWorkGroup2, 72
v_mov_b32 v72, v130                                // temp store offset 0
v_mov_b32 v73, v131                                // temp store offset 1
v_cmp_lt_u32 s[38:39], v70, s[sgprSizesFree+0]     // coord0 < size0
v_cmp_lt_u32 s[40:41], v65, s[sgprSizesFree+1]     // coord1 < size1
s_and_b64 s[60:61], s[38:39], s[40:41]             // in0 && in1
s_mov_b64 exec, s[60:61]                           // sgprs -> exec
_v_add_co_u32 v130, vcc, v68, v72                  // addrVgpr = C + index*bytes (lo)
_v_addc_co_u32 v131, vcc, v69, v73, vcc            // addrVgpr = C + index*bytes (hi)
_global_load_b64 v[132:133], v[130:131], off, offset:0,  sc0 sc1 // load C for beta calc
GLOBAL_OFFSET_D 130, 70, 65, sgprWorkGroup2, 72
v_mov_b32 v72, v130                                // temp store offset 0
v_mov_b32 v73, v131                                // temp store offset 1
v_cmp_lt_u32 s[38:39], v70, s[sgprSizesFree+0]     // coord0 < size0
v_cmp_lt_u32 s[40:41], v65, s[sgprSizesFree+1]     // coord1 < size1
s_and_b64 s[60:61], s[38:39], s[40:41]             // in0 && in1
s_mov_b64 exec, s[60:61]                           // sgprs -> exec
_v_add_co_u32 v130, vcc, v66, v72                  // addrVgpr = D + index*bytes (lo)
_v_addc_co_u32 v131, vcc, v67, v73, vcc            // addrVgpr = D + index*bytes (hi)
s_mov_b64 exec, -1                                 // full mask -1 -> exec
/* (d1,vc1,d0,vc0)=(2,0,1,0) */
_v_add_co_u32 v70, vcc, v64, 32                    // coord0.1: coord0 += d0*sg0*VW + vc0
GLOBAL_OFFSET_C 136, 70, 65, sgprWorkGroup2, 72
v_mov_b32 v72, v136                                // temp store offset 0
v_mov_b32 v73, v137                                // temp store offset 1
v_cmp_lt_u32 s[38:39], v70, s[sgprSizesFree+0]     // coord0 < size0
v_cmp_lt_u32 s[40:41], v65, s[sgprSizesFree+1]     // coord1 < size1
s_and_b64 s[62:63], s[38:39], s[40:41]             // in0 && in1
s_mov_b64 exec, s[62:63]                           // sgprs -> exec
_v_add_co_u32 v136, vcc, v68, v72                  // addrVgpr = C + index*bytes (lo)
_v_addc_co_u32 v137, vcc, v69, v73, vcc            // addrVgpr = C + index*bytes (hi)
_global_load_b64 v[138:139], v[136:137], off, offset:0,  sc0 sc1 // load C for beta calc
GLOBAL_OFFSET_D 136, 70, 65, sgprWorkGroup2, 72
v_mov_b32 v72, v136                                // temp store offset 0
v_mov_b32 v73, v137                                // temp store offset 1
v_cmp_lt_u32 s[38:39], v70, s[sgprSizesFree+0]     // coord0 < size0
v_cmp_lt_u32 s[40:41], v65, s[sgprSizesFree+1]     // coord1 < size1
s_and_b64 s[62:63], s[38:39], s[40:41]             // in0 && in1
s_mov_b64 exec, s[62:63]                           // sgprs -> exec
_v_add_co_u32 v136, vcc, v66, v72                  // addrVgpr = D + index*bytes (lo)
_v_addc_co_u32 v137, vcc, v67, v73, vcc            // addrVgpr = D + index*bytes (hi)
s_mov_b64 exec, -1                                 // full mask -1 -> exec
/* (d1,vc1,d0,vc0)=(2,0,1,1) */
_v_add_co_u32 v70, vcc, v64, 33                    // coord0.1: coord0 += d0*sg0*VW + vc0
GLOBAL_OFFSET_C 142, 70, 65, sgprWorkGroup2, 72
v_mov_b32 v72, v142                                // temp store offset 0
v_mov_b32 v73, v143                                // temp store offset 1
v_cmp_lt_u32 s[38:39], v70, s[sgprSizesFree+0]     // coord0 < size0
v_cmp_lt_u32 s[40:41], v65, s[sgprSizesFree+1]     // coord1 < size1
s_and_b64 s[64:65], s[38:39], s[40:41]             // in0 && in1
s_mov_b64 exec, s[64:65]                           // sgprs -> exec
_v_add_co_u32 v142, vcc, v68, v72                  // addrVgpr = C + index*bytes (lo)
_v_addc_co_u32 v143, vcc, v69, v73, vcc            // addrVgpr = C + index*bytes (hi)
_global_load_b64 v[144:145], v[142:143], off, offset:0,  sc0 sc1 // load C for beta calc
GLOBAL_OFFSET_D 142, 70, 65, sgprWorkGroup2, 72
v_mov_b32 v72, v142                                // temp store offset 0
v_mov_b32 v73, v143                                // temp store offset 1
v_cmp_lt_u32 s[38:39], v70, s[sgprSizesFree+0]     // coord0 < size0
v_cmp_lt_u32 s[40:41], v65, s[sgprSizesFree+1]     // coord1 < size1
s_and_b64 s[64:65], s[38:39], s[40:41]             // in0 && in1
s_mov_b64 exec, s[64:65]                           // sgprs -> exec
_v_add_co_u32 v142, vcc, v66, v72                  // addrVgpr = D + index*bytes (lo)
_v_addc_co_u32 v143, vcc, v67, v73, vcc            // addrVgpr = D + index*bytes (hi)
s_mov_b64 exec, -1                                 // full mask -1 -> exec
/* (d1,vc1,d0,vc0)=(3,0,0,0) */
_v_add_co_u32 v65, vcc, v65, 4                     // coord1.1: coord1Vgpr += d1*sg1*VW + vc1
GLOBAL_OFFSET_C 148, 64, 65, sgprWorkGroup2, 72
v_mov_b32 v72, v148                                // temp store offset 0
v_mov_b32 v73, v149                                // temp store offset 1
v_cmp_lt_u32 s[38:39], v64, s[sgprSizesFree+0]     // coord0 < size0
v_cmp_lt_u32 s[40:41], v65, s[sgprSizesFree+1]     // coord1 < size1
s_and_b64 s[66:67], s[38:39], s[40:41]             // in0 && in1
s_mov_b64 exec, s[66:67]                           // sgprs -> exec
_v_add_co_u32 v148, vcc, v68, v72                  // addrVgpr = C + index*bytes (lo)
_v_addc_co_u32 v149, vcc, v69, v73, vcc            // addrVgpr = C + index*bytes (hi)
_global_load_b64 v[150:151], v[148:149], off, offset:0,  sc0 sc1 // load C for beta calc
GLOBAL_OFFSET_D 148, 64, 65, sgprWorkGroup2, 72
v_mov_b32 v72, v148                                // temp store offset 0
v_mov_b32 v73, v149                                // temp store offset 1
v_cmp_lt_u32 s[38:39], v64, s[sgprSizesFree+0]     // coord0 < size0
v_cmp_lt_u32 s[40:41], v65, s[sgprSizesFree+1]     // coord1 < size1
s_and_b64 s[66:67], s[38:39], s[40:41]             // in0 && in1
s_mov_b64 exec, s[66:67]                           // sgprs -> exec
_v_add_co_u32 v148, vcc, v66, v72                  // addrVgpr = D + index*bytes (lo)
_v_addc_co_u32 v149, vcc, v67, v73, vcc            // addrVgpr = D + index*bytes (hi)
s_mov_b64 exec, -1                                 // full mask -1 -> exec
/* (d1,vc1,d0,vc0)=(3,0,0,1) */
_v_add_co_u32 v70, vcc, v64, 1                     // coord0.1: coord0 += d0*sg0*VW + vc0
GLOBAL_OFFSET_C 158, 70, 65, sgprWorkGroup2, 72
v_mov_b32 v72, v158                                // temp store offset 0
v_mov_b32 v73, v159                                // temp store offset 1
v_cmp_lt_u32 s[38:39], v70, s[sgprSizesFree+0]     // coord0 < size0
v_cmp_lt_u32 s[40:41], v65, s[sgprSizesFree+1]     // coord1 < size1
s_and_b64 s[68:69], s[38:39], s[40:41]             // in0 && in1
s_mov_b64 exec, s[68:69]                           // sgprs -> exec
_v_add_co_u32 v158, vcc, v68, v72                  // addrVgpr = C + index*bytes (lo)
_v_addc_co_u32 v159, vcc, v69, v73, vcc            // addrVgpr = C + index*bytes (hi)
_global_load_b64 v[160:161], v[158:159], off, offset:0,  sc0 sc1 // load C for beta calc
GLOBAL_OFFSET_D 158, 70, 65, sgprWorkGroup2, 72
v_mov_b32 v72, v158                                // temp store offset 0
v_mov_b32 v73, v159                                // temp store offset 1
v_cmp_lt_u32 s[38:39], v70, s[sgprSizesFree+0]     // coord0 < size0
v_cmp_lt_u32 s[40:41], v65, s[sgprSizesFree+1]     // coord1 < size1
s_and_b64 s[68:69], s[38:39], s[40:41]             // in0 && in1
s_mov_b64 exec, s[68:69]                           // sgprs -> exec
_v_add_co_u32 v158, vcc, v66, v72                  // addrVgpr = D + index*bytes (lo)
_v_addc_co_u32 v159, vcc, v67, v73, vcc            // addrVgpr = D + index*bytes (hi)
s_mov_b64 exec, -1                                 // full mask -1 -> exec
/* (d1,vc1,d0,vc0)=(3,0,1,0) */
_v_add_co_u32 v70, vcc, v64, 32                    // coord0.1: coord0 += d0*sg0*VW + vc0
GLOBAL_OFFSET_C 164, 70, 65, sgprWorkGroup2, 72
v_mov_b32 v72, v164                                // temp store offset 0
v_mov_b32 v73, v165                                // temp store offset 1
v_cmp_lt_u32 s[38:39], v70, s[sgprSizesFree+0]     // coord0 < size0
v_cmp_lt_u32 s[40:41], v65, s[sgprSizesFree+1]     // coord1 < size1
s_and_b64 s[70:71], s[38:39], s[40:41]             // in0 && in1
s_mov_b64 exec, s[70:71]                           // sgprs -> exec
_v_add_co_u32 v164, vcc, v68, v72                  // addrVgpr = C + index*bytes (lo)
_v_addc_co_u32 v165, vcc, v69, v73, vcc            // addrVgpr = C + index*bytes (hi)
_global_load_b64 v[166:167], v[164:165], off, offset:0,  sc0 sc1 // load C for beta calc
GLOBAL_OFFSET_D 164, 70, 65, sgprWorkGroup2, 72
v_mov_b32 v72, v164                                // temp store offset 0
v_mov_b32 v73, v165                                // temp store offset 1
v_cmp_lt_u32 s[38:39], v70, s[sgprSizesFree+0]     // coord0 < size0
v_cmp_lt_u32 s[40:41], v65, s[sgprSizesFree+1]     // coord1 < size1
s_and_b64 s[70:71], s[38:39], s[40:41]             // in0 && in1
s_mov_b64 exec, s[70:71]                           // sgprs -> exec
_v_add_co_u32 v164, vcc, v66, v72                  // addrVgpr = D + index*bytes (lo)
_v_addc_co_u32 v165, vcc, v67, v73, vcc            // addrVgpr = D + index*bytes (hi)
s_mov_b64 exec, -1                                 // full mask -1 -> exec
/* (d1,vc1,d0,vc0)=(3,0,1,1) */
_v_add_co_u32 v70, vcc, v64, 33                    // coord0.1: coord0 += d0*sg0*VW + vc0
GLOBAL_OFFSET_C 170, 70, 65, sgprWorkGroup2, 72
v_mov_b32 v72, v170                                // temp store offset 0
v_mov_b32 v73, v171                                // temp store offset 1
v_cmp_lt_u32 s[38:39], v70, s[sgprSizesFree+0]     // coord0 < size0
v_cmp_lt_u32 s[40:41], v65, s[sgprSizesFree+1]     // coord1 < size1
s_and_b64 s[72:73], s[38:39], s[40:41]             // in0 && in1
s_mov_b64 exec, s[72:73]                           // sgprs -> exec
_v_add_co_u32 v170, vcc, v68, v72                  // addrVgpr = C + index*bytes (lo)
_v_addc_co_u32 v171, vcc, v69, v73, vcc            // addrVgpr = C + index*bytes (hi)
_global_load_b64 v[172:173], v[170:171], off, offset:0,  sc0 sc1 // load C for beta calc
GLOBAL_OFFSET_D 170, 70, 65, sgprWorkGroup2, 72
v_mov_b32 v72, v170                                // temp store offset 0
v_mov_b32 v73, v171                                // temp store offset 1
v_cmp_lt_u32 s[38:39], v70, s[sgprSizesFree+0]     // coord0 < size0
v_cmp_lt_u32 s[40:41], v65, s[sgprSizesFree+1]     // coord1 < size1
s_and_b64 s[72:73], s[38:39], s[40:41]             // in0 && in1
s_mov_b64 exec, s[72:73]                           // sgprs -> exec
_v_add_co_u32 v170, vcc, v66, v72                  // addrVgpr = D + index*bytes (lo)
_v_addc_co_u32 v171, vcc, v67, v73, vcc            // addrVgpr = D + index*bytes (hi)
s_mov_b64 exec, -1                                 // full mask -1 -> exec
/* (d1,vc1,d0,vc0)=(4,0,0,0) */
_v_add_co_u32 v65, vcc, v65, 52                    // coord1.1: coord1Vgpr += d1*sg1*VW + vc1
GLOBAL_OFFSET_C 176, 64, 65, sgprWorkGroup2, 72
v_mov_b32 v72, v176                                // temp store offset 0
v_mov_b32 v73, v177                                // temp store offset 1
v_cmp_lt_u32 s[38:39], v64, s[sgprSizesFree+0]     // coord0 < size0
v_cmp_lt_u32 s[40:41], v65, s[sgprSizesFree+1]     // coord1 < size1
s_and_b64 s[74:75], s[38:39], s[40:41]             // in0 && in1
s_mov_b64 exec, s[74:75]                           // sgprs -> exec
_v_add_co_u32 v176, vcc, v68, v72                  // addrVgpr = C + index*bytes (lo)
_v_addc_co_u32 v177, vcc, v69, v73, vcc            // addrVgpr = C + index*bytes (hi)
_global_load_b64 v[178:179], v[176:177], off, offset:0,  sc0 sc1 // load C for beta calc
GLOBAL_OFFSET_D 176, 64, 65, sgprWorkGroup2, 72
v_mov_b32 v72, v176                                // temp store offset 0
v_mov_b32 v73, v177                                // temp store offset 1
v_cmp_lt_u32 s[38:39], v64, s[sgprSizesFree+0]     // coord0 < size0
v_cmp_lt_u32 s[40:41], v65, s[sgprSizesFree+1]     // coord1 < size1
s_and_b64 s[74:75], s[38:39], s[40:41]             // in0 && in1
s_mov_b64 exec, s[74:75]                           // sgprs -> exec
_v_add_co_u32 v176, vcc, v66, v72                  // addrVgpr = D + index*bytes (lo)
_v_addc_co_u32 v177, vcc, v67, v73, vcc            // addrVgpr = D + index*bytes (hi)
s_mov_b64 exec, -1                                 // full mask -1 -> exec
/* (d1,vc1,d0,vc0)=(4,0,0,1) */
_v_add_co_u32 v70, vcc, v64, 1                     // coord0.1: coord0 += d0*sg0*VW + vc0
GLOBAL_OFFSET_C 182, 70, 65, sgprWorkGroup2, 72
v_mov_b32 v72, v182                                // temp store offset 0
v_mov_b32 v73, v183                                // temp store offset 1
v_cmp_lt_u32 s[38:39], v70, s[sgprSizesFree+0]     // coord0 < size0
v_cmp_lt_u32 s[40:41], v65, s[sgprSizesFree+1]     // coord1 < size1
s_and_b64 s[76:77], s[38:39], s[40:41]             // in0 && in1
s_mov_b64 exec, s[76:77]                           // sgprs -> exec
_v_add_co_u32 v182, vcc, v68, v72                  // addrVgpr = C + index*bytes (lo)
_v_addc_co_u32 v183, vcc, v69, v73, vcc            // addrVgpr = C + index*bytes (hi)
_global_load_b64 v[184:185], v[182:183], off, offset:0,  sc0 sc1 // load C for beta calc
GLOBAL_OFFSET_D 182, 70, 65, sgprWorkGroup2, 72
v_mov_b32 v72, v182                                // temp store offset 0
v_mov_b32 v73, v183                                // temp store offset 1
v_cmp_lt_u32 s[38:39], v70, s[sgprSizesFree+0]     // coord0 < size0
v_cmp_lt_u32 s[40:41], v65, s[sgprSizesFree+1]     // coord1 < size1
s_and_b64 s[76:77], s[38:39], s[40:41]             // in0 && in1
s_mov_b64 exec, s[76:77]                           // sgprs -> exec
_v_add_co_u32 v182, vcc, v66, v72                  // addrVgpr = D + index*bytes (lo)
_v_addc_co_u32 v183, vcc, v67, v73, vcc            // addrVgpr = D + index*bytes (hi)
s_mov_b64 exec, -1                                 // full mask -1 -> exec
/* (d1,vc1,d0,vc0)=(4,0,1,0) */
_v_add_co_u32 v70, vcc, v64, 32                    // coord0.1: coord0 += d0*sg0*VW + vc0
GLOBAL_OFFSET_C 188, 70, 65, sgprWorkGroup2, 72
v_mov_b32 v72, v188                                // temp store offset 0
v_mov_b32 v73, v189                                // temp store offset 1
v_cmp_lt_u32 s[38:39], v70, s[sgprSizesFree+0]     // coord0 < size0
v_cmp_lt_u32 s[40:41], v65, s[sgprSizesFree+1]     // coord1 < size1
s_and_b64 s[78:79], s[38:39], s[40:41]             // in0 && in1
s_mov_b64 exec, s[78:79]                           // sgprs -> exec
_v_add_co_u32 v188, vcc, v68, v72                  // addrVgpr = C + index*bytes (lo)
_v_addc_co_u32 v189, vcc, v69, v73, vcc            // addrVgpr = C + index*bytes (hi)
_global_load_b64 v[190:191], v[188:189], off, offset:0,  sc0 sc1 // load C for beta calc
GLOBAL_OFFSET_D 188, 70, 65, sgprWorkGroup2, 72
v_mov_b32 v72, v188                                // temp store offset 0
v_mov_b32 v73, v189                                // temp store offset 1
v_cmp_lt_u32 s[38:39], v70, s[sgprSizesFree+0]     // coord0 < size0
v_cmp_lt_u32 s[40:41], v65, s[sgprSizesFree+1]     // coord1 < size1
s_and_b64 s[78:79], s[38:39], s[40:41]             // in0 && in1
s_mov_b64 exec, s[78:79]                           // sgprs -> exec
_v_add_co_u32 v188, vcc, v66, v72                  // addrVgpr = D + index*bytes (lo)
_v_addc_co_u32 v189, vcc, v67, v73, vcc            // addrVgpr = D + index*bytes (hi)
s_mov_b64 exec, -1                                 // full mask -1 -> exec
/* (d1,vc1,d0,vc0)=(4,0,1,1) */
_v_add_co_u32 v70, vcc, v64, 33                    // coord0.1: coord0 += d0*sg0*VW + vc0
GLOBAL_OFFSET_C 194, 70, 65, sgprWorkGroup2, 72
v_mov_b32 v72, v194                                // temp store offset 0
v_mov_b32 v73, v195                                // temp store offset 1
v_cmp_lt_u32 s[38:39], v70, s[sgprSizesFree+0]     // coord0 < size0
v_cmp_lt_u32 s[40:41], v65, s[sgprSizesFree+1]     // coord1 < size1
s_and_b64 s[80:81], s[38:39], s[40:41]             // in0 && in1
s_mov_b64 exec, s[80:81]                           // sgprs -> exec
_v_add_co_u32 v194, vcc, v68, v72                  // addrVgpr = C + index*bytes (lo)
_v_addc_co_u32 v195, vcc, v69, v73, vcc            // addrVgpr = C + index*bytes (hi)
_global_load_b64 v[196:197], v[194:195], off, offset:0,  sc0 sc1 // load C for beta calc
GLOBAL_OFFSET_D 194, 70, 65, sgprWorkGroup2, 72
v_mov_b32 v72, v194                                // temp store offset 0
v_mov_b32 v73, v195                                // temp store offset 1
v_cmp_lt_u32 s[38:39], v70, s[sgprSizesFree+0]     // coord0 < size0
v_cmp_lt_u32 s[40:41], v65, s[sgprSizesFree+1]     // coord1 < size1
s_and_b64 s[80:81], s[38:39], s[40:41]             // in0 && in1
s_mov_b64 exec, s[80:81]                           // sgprs -> exec
_v_add_co_u32 v194, vcc, v66, v72                  // addrVgpr = D + index*bytes (lo)
_v_addc_co_u32 v195, vcc, v67, v73, vcc            // addrVgpr = D + index*bytes (hi)
s_mov_b64 exec, -1                                 // full mask -1 -> exec
/* (d1,vc1,d0,vc0)=(5,0,0,0) */
_v_add_co_u32 v65, vcc, v65, 4                     // coord1.1: coord1Vgpr += d1*sg1*VW + vc1
GLOBAL_OFFSET_C 200, 64, 65, sgprWorkGroup2, 72
v_mov_b32 v72, v200                                // temp store offset 0
v_mov_b32 v73, v201                                // temp store offset 1
v_cmp_lt_u32 s[38:39], v64, s[sgprSizesFree+0]     // coord0 < size0
v_cmp_lt_u32 s[40:41], v65, s[sgprSizesFree+1]     // coord1 < size1
s_and_b64 s[82:83], s[38:39], s[40:41]             // in0 && in1
s_mov_b64 exec, s[82:83]                           // sgprs -> exec
_v_add_co_u32 v200, vcc, v68, v72                  // addrVgpr = C + index*bytes (lo)
_v_addc_co_u32 v201, vcc, v69, v73, vcc            // addrVgpr = C + index*bytes (hi)
_global_load_b64 v[202:203], v[200:201], off, offset:0,  sc0 sc1 // load C for beta calc
GLOBAL_OFFSET_D 200, 64, 65, sgprWorkGroup2, 72
v_mov_b32 v72, v200                                // temp store offset 0
v_mov_b32 v73, v201                                // temp store offset 1
v_cmp_lt_u32 s[38:39], v64, s[sgprSizesFree+0]     // coord0 < size0
v_cmp_lt_u32 s[40:41], v65, s[sgprSizesFree+1]     // coord1 < size1
s_and_b64 s[82:83], s[38:39], s[40:41]             // in0 && in1
s_mov_b64 exec, s[82:83]                           // sgprs -> exec
_v_add_co_u32 v200, vcc, v66, v72                  // addrVgpr = D + index*bytes (lo)
_v_addc_co_u32 v201, vcc, v67, v73, vcc            // addrVgpr = D + index*bytes (hi)
s_mov_b64 exec, -1                                 // full mask -1 -> exec
/* (d1,vc1,d0,vc0)=(5,0,0,1) */
_v_add_co_u32 v70, vcc, v64, 1                     // coord0.1: coord0 += d0*sg0*VW + vc0
GLOBAL_OFFSET_C 206, 70, 65, sgprWorkGroup2, 72
v_mov_b32 v72, v206                                // temp store offset 0
v_mov_b32 v73, v207                                // temp store offset 1
v_cmp_lt_u32 s[38:39], v70, s[sgprSizesFree+0]     // coord0 < size0
v_cmp_lt_u32 s[40:41], v65, s[sgprSizesFree+1]     // coord1 < size1
s_and_b64 s[84:85], s[38:39], s[40:41]             // in0 && in1
s_mov_b64 exec, s[84:85]                           // sgprs -> exec
_v_add_co_u32 v206, vcc, v68, v72                  // addrVgpr = C + index*bytes (lo)
_v_addc_co_u32 v207, vcc, v69, v73, vcc            // addrVgpr = C + index*bytes (hi)
_global_load_b64 v[208:209], v[206:207], off, offset:0,  sc0 sc1 // load C for beta calc
GLOBAL_OFFSET_D 206, 70, 65, sgprWorkGroup2, 72
v_mov_b32 v72, v206                                // temp store offset 0
v_mov_b32 v73, v207                                // temp store offset 1
v_cmp_lt_u32 s[38:39], v70, s[sgprSizesFree+0]     // coord0 < size0
v_cmp_lt_u32 s[40:41], v65, s[sgprSizesFree+1]     // coord1 < size1
s_and_b64 s[84:85], s[38:39], s[40:41]             // in0 && in1
s_mov_b64 exec, s[84:85]                           // sgprs -> exec
_v_add_co_u32 v206, vcc, v66, v72                  // addrVgpr = D + index*bytes (lo)
_v_addc_co_u32 v207, vcc, v67, v73, vcc            // addrVgpr = D + index*bytes (hi)
s_mov_b64 exec, -1                                 // full mask -1 -> exec
/* (d1,vc1,d0,vc0)=(5,0,1,0) */
_v_add_co_u32 v70, vcc, v64, 32                    // coord0.1: coord0 += d0*sg0*VW + vc0
GLOBAL_OFFSET_C 212, 70, 65, sgprWorkGroup2, 72
v_mov_b32 v72, v212                                // temp store offset 0
v_mov_b32 v73, v213                                // temp store offset 1
v_cmp_lt_u32 s[38:39], v70, s[sgprSizesFree+0]     // coord0 < size0
v_cmp_lt_u32 s[40:41], v65, s[sgprSizesFree+1]     // coord1 < size1
s_and_b64 s[86:87], s[38:39], s[40:41]             // in0 && in1
s_mov_b64 exec, s[86:87]                           // sgprs -> exec
_v_add_co_u32 v212, vcc, v68, v72                  // addrVgpr = C + index*bytes (lo)
_v_addc_co_u32 v213, vcc, v69, v73, vcc            // addrVgpr = C + index*bytes (hi)
_global_load_b64 v[214:215], v[212:213], off, offset:0,  sc0 sc1 // load C for beta calc
GLOBAL_OFFSET_D 212, 70, 65, sgprWorkGroup2, 72
v_mov_b32 v72, v212                                // temp store offset 0
v_mov_b32 v73, v213                                // temp store offset 1
v_cmp_lt_u32 s[38:39], v70, s[sgprSizesFree+0]     // coord0 < size0
v_cmp_lt_u32 s[40:41], v65, s[sgprSizesFree+1]     // coord1 < size1
s_and_b64 s[86:87], s[38:39], s[40:41]             // in0 && in1
s_mov_b64 exec, s[86:87]                           // sgprs -> exec
_v_add_co_u32 v212, vcc, v66, v72                  // addrVgpr = D + index*bytes (lo)
_v_addc_co_u32 v213, vcc, v67, v73, vcc            // addrVgpr = D + index*bytes (hi)
s_mov_b64 exec, -1                                 // full mask -1 -> exec
/* (d1,vc1,d0,vc0)=(5,0,1,1) */
_v_add_co_u32 v70, vcc, v64, 33                    // coord0.1: coord0 += d0*sg0*VW + vc0
GLOBAL_OFFSET_C 218, 70, 65, sgprWorkGroup2, 72
v_mov_b32 v72, v218                                // temp store offset 0
v_mov_b32 v73, v219                                // temp store offset 1
v_cmp_lt_u32 s[38:39], v70, s[sgprSizesFree+0]     // coord0 < size0
v_cmp_lt_u32 s[40:41], v65, s[sgprSizesFree+1]     // coord1 < size1
s_and_b64 s[88:89], s[38:39], s[40:41]             // in0 && in1
s_mov_b64 exec, s[88:89]                           // sgprs -> exec
_v_add_co_u32 v218, vcc, v68, v72                  // addrVgpr = C + index*bytes (lo)
_v_addc_co_u32 v219, vcc, v69, v73, vcc            // addrVgpr = C + index*bytes (hi)
_global_load_b64 v[220:221], v[218:219], off, offset:0,  sc0 sc1 // load C for beta calc
GLOBAL_OFFSET_D 218, 70, 65, sgprWorkGroup2, 72
v_mov_b32 v72, v218                                // temp store offset 0
v_mov_b32 v73, v219                                // temp store offset 1
v_cmp_lt_u32 s[38:39], v70, s[sgprSizesFree+0]     // coord0 < size0
v_cmp_lt_u32 s[40:41], v65, s[sgprSizesFree+1]     // coord1 < size1
s_and_b64 s[88:89], s[38:39], s[40:41]             // in0 && in1
s_mov_b64 exec, s[88:89]                           // sgprs -> exec
_v_add_co_u32 v218, vcc, v66, v72                  // addrVgpr = D + index*bytes (lo)
_v_addc_co_u32 v219, vcc, v67, v73, vcc            // addrVgpr = D + index*bytes (hi)
s_mov_b64 exec, -1                                 // full mask -1 -> exec
/* (d1,vc1,d0,vc0)=(6,0,0,0) */
_v_add_co_u32 v65, vcc, v65, 4                     // coord1.1: coord1Vgpr += d1*sg1*VW + vc1
GLOBAL_OFFSET_C 224, 64, 65, sgprWorkGroup2, 72
v_mov_b32 v72, v224                                // temp store offset 0
v_mov_b32 v73, v225                                // temp store offset 1
v_cmp_lt_u32 s[38:39], v64, s[sgprSizesFree+0]     // coord0 < size0
v_cmp_lt_u32 s[40:41], v65, s[sgprSizesFree+1]     // coord1 < size1
s_and_b64 s[90:91], s[38:39], s[40:41]             // in0 && in1
s_mov_b64 exec, s[90:91]                           // sgprs -> exec
_v_add_co_u32 v224, vcc, v68, v72                  // addrVgpr = C + index*bytes (lo)
_v_addc_co_u32 v225, vcc, v69, v73, vcc            // addrVgpr = C + index*bytes (hi)
_global_load_b64 v[226:227], v[224:225], off, offset:0,  sc0 sc1 // load C for beta calc
GLOBAL_OFFSET_D 224, 64, 65, sgprWorkGroup2, 72
v_mov_b32 v72, v224                                // temp store offset 0
v_mov_b32 v73, v225                                // temp store offset 1
v_cmp_lt_u32 s[38:39], v64, s[sgprSizesFree+0]     // coord0 < size0
v_cmp_lt_u32 s[40:41], v65, s[sgprSizesFree+1]     // coord1 < size1
s_and_b64 s[90:91], s[38:39], s[40:41]             // in0 && in1
s_mov_b64 exec, s[90:91]                           // sgprs -> exec
_v_add_co_u32 v224, vcc, v66, v72                  // addrVgpr = D + index*bytes (lo)
_v_addc_co_u32 v225, vcc, v67, v73, vcc            // addrVgpr = D + index*bytes (hi)
s_mov_b64 exec, -1                                 // full mask -1 -> exec
/* (d1,vc1,d0,vc0)=(6,0,0,1) */
_v_add_co_u32 v70, vcc, v64, 1                     // coord0.1: coord0 += d0*sg0*VW + vc0
GLOBAL_OFFSET_C 230, 70, 65, sgprWorkGroup2, 72
v_mov_b32 v72, v230                                // temp store offset 0
v_mov_b32 v73, v231                                // temp store offset 1
v_cmp_lt_u32 s[38:39], v70, s[sgprSizesFree+0]     // coord0 < size0
v_cmp_lt_u32 s[40:41], v65, s[sgprSizesFree+1]     // coord1 < size1
s_and_b64 s[92:93], s[38:39], s[40:41]             // in0 && in1
s_mov_b64 exec, s[92:93]                           // sgprs -> exec
_v_add_co_u32 v230, vcc, v68, v72                  // addrVgpr = C + index*bytes (lo)
_v_addc_co_u32 v231, vcc, v69, v73, vcc            // addrVgpr = C + index*bytes (hi)
_global_load_b64 v[232:233], v[230:231], off, offset:0,  sc0 sc1 // load C for beta calc
GLOBAL_OFFSET_D 230, 70, 65, sgprWorkGroup2, 72
v_mov_b32 v72, v230                                // temp store offset 0
v_mov_b32 v73, v231                                // temp store offset 1
v_cmp_lt_u32 s[38:39], v70, s[sgprSizesFree+0]     // coord0 < size0
v_cmp_lt_u32 s[40:41], v65, s[sgprSizesFree+1]     // coord1 < size1
s_and_b64 s[92:93], s[38:39], s[40:41]             // in0 && in1
s_mov_b64 exec, s[92:93]                           // sgprs -> exec
_v_add_co_u32 v230, vcc, v66, v72                  // addrVgpr = D + index*bytes (lo)
_v_addc_co_u32 v231, vcc, v67, v73, vcc            // addrVgpr = D + index*bytes (hi)
s_mov_b64 exec, -1                                 // full mask -1 -> exec
/* (d1,vc1,d0,vc0)=(6,0,1,0) */
_v_add_co_u32 v70, vcc, v64, 32                    // coord0.1: coord0 += d0*sg0*VW + vc0
GLOBAL_OFFSET_C 236, 70, 65, sgprWorkGroup2, 72
v_mov_b32 v72, v236                                // temp store offset 0
v_mov_b32 v73, v237                                // temp store offset 1
v_cmp_lt_u32 s[38:39], v70, s[sgprSizesFree+0]     // coord0 < size0
v_cmp_lt_u32 s[40:41], v65, s[sgprSizesFree+1]     // coord1 < size1
s_and_b64 s[94:95], s[38:39], s[40:41]             // in0 && in1
s_mov_b64 exec, s[94:95]                           // sgprs -> exec
_v_add_co_u32 v236, vcc, v68, v72                  // addrVgpr = C + index*bytes (lo)
_v_addc_co_u32 v237, vcc, v69, v73, vcc            // addrVgpr = C + index*bytes (hi)
_global_load_b64 v[238:239], v[236:237], off, offset:0,  sc0 sc1 // load C for beta calc
GLOBAL_OFFSET_D 236, 70, 65, sgprWorkGroup2, 72
v_mov_b32 v72, v236                                // temp store offset 0
v_mov_b32 v73, v237                                // temp store offset 1
v_cmp_lt_u32 s[38:39], v70, s[sgprSizesFree+0]     // coord0 < size0
v_cmp_lt_u32 s[40:41], v65, s[sgprSizesFree+1]     // coord1 < size1
s_and_b64 s[94:95], s[38:39], s[40:41]             // in0 && in1
s_mov_b64 exec, s[94:95]                           // sgprs -> exec
_v_add_co_u32 v236, vcc, v66, v72                  // addrVgpr = D + index*bytes (lo)
_v_addc_co_u32 v237, vcc, v67, v73, vcc            // addrVgpr = D + index*bytes (hi)
s_mov_b64 exec, -1                                 // full mask -1 -> exec
/* (d1,vc1,d0,vc0)=(6,0,1,1) */
_v_add_co_u32 v70, vcc, v64, 33                    // coord0.1: coord0 += d0*sg0*VW + vc0
GLOBAL_OFFSET_C 242, 70, 65, sgprWorkGroup2, 72
v_mov_b32 v72, v242                                // temp store offset 0
v_mov_b32 v73, v243                                // temp store offset 1
v_cmp_lt_u32 s[38:39], v70, s[sgprSizesFree+0]     // coord0 < size0
v_cmp_lt_u32 s[40:41], v65, s[sgprSizesFree+1]     // coord1 < size1
s_and_b64 s[96:97], s[38:39], s[40:41]             // in0 && in1
s_mov_b64 exec, s[96:97]                           // sgprs -> exec
_v_add_co_u32 v242, vcc, v68, v72                  // addrVgpr = C + index*bytes (lo)
_v_addc_co_u32 v243, vcc, v69, v73, vcc            // addrVgpr = C + index*bytes (hi)
_global_load_b64 v[244:245], v[242:243], off, offset:0,  sc0 sc1 // load C for beta calc
GLOBAL_OFFSET_D 242, 70, 65, sgprWorkGroup2, 72
v_mov_b32 v72, v242                                // temp store offset 0
v_mov_b32 v73, v243                                // temp store offset 1
v_cmp_lt_u32 s[38:39], v70, s[sgprSizesFree+0]     // coord0 < size0
v_cmp_lt_u32 s[40:41], v65, s[sgprSizesFree+1]     // coord1 < size1
s_and_b64 s[96:97], s[38:39], s[40:41]             // in0 && in1
s_mov_b64 exec, s[96:97]                           // sgprs -> exec
_v_add_co_u32 v242, vcc, v66, v72                  // addrVgpr = D + index*bytes (lo)
_v_addc_co_u32 v243, vcc, v67, v73, vcc            // addrVgpr = D + index*bytes (hi)
s_mov_b64 exec, -1                                 // full mask -1 -> exec
/* (d1,vc1,d0,vc0)=(7,0,0,0) */
_v_add_co_u32 v65, vcc, v65, 4                     // coord1.1: coord1Vgpr += d1*sg1*VW + vc1
GLOBAL_OFFSET_C 248, 64, 65, sgprWorkGroup2, 72
v_mov_b32 v72, v248                                // temp store offset 0
v_mov_b32 v73, v249                                // temp store offset 1
v_cmp_lt_u32 s[38:39], v64, s[sgprSizesFree+0]     // coord0 < size0
v_cmp_lt_u32 s[40:41], v65, s[sgprSizesFree+1]     // coord1 < size1
s_and_b64 s[98:99], s[38:39], s[40:41]             // in0 && in1
s_mov_b64 exec, s[98:99]                           // sgprs -> exec
_v_add_co_u32 v248, vcc, v68, v72                  // addrVgpr = C + index*bytes (lo)
_v_addc_co_u32 v249, vcc, v69, v73, vcc            // addrVgpr = C + index*bytes (hi)
_global_load_b64 v[250:251], v[248:249], off, offset:0,  sc0 sc1 // load C for beta calc
GLOBAL_OFFSET_D 248, 64, 65, sgprWorkGroup2, 72
v_mov_b32 v72, v248                                // temp store offset 0
v_mov_b32 v73, v249                                // temp store offset 1
v_cmp_lt_u32 s[38:39], v64, s[sgprSizesFree+0]     // coord0 < size0
v_cmp_lt_u32 s[40:41], v65, s[sgprSizesFree+1]     // coord1 < size1
s_and_b64 s[98:99], s[38:39], s[40:41]             // in0 && in1
s_mov_b64 exec, s[98:99]                           // sgprs -> exec
_v_add_co_u32 v248, vcc, v66, v72                  // addrVgpr = D + index*bytes (lo)
_v_addc_co_u32 v249, vcc, v67, v73, vcc            // addrVgpr = D + index*bytes (hi)
s_mov_b64 exec, -1                                 // full mask -1 -> exec
s_sleep 7 // optimization: sync and wait
s_barrier
s_waitcnt vmcnt(0)                                 // wait C

/* apply mask, calc new C and issue writes */
s_mov_b64 exec, s[42:43]                           // sgprs -> exec
v_fma_f64 v[vgprValuC+80:vgprValuC+80+1], v[78:79], s[sgprBeta:sgprBeta+1], v[vgprValuC+80:vgprValuC+80+1] // finalSum = sum*alpha + C*beta
_global_store_b64 v[76:77], v[80:81], off,  sc0 sc1 // store D
s_mov_b64 exec, s[44:45]                           // sgprs -> exec
v_fma_f64 v[vgprValuC+86:vgprValuC+86+1], v[84:85], s[sgprBeta:sgprBeta+1], v[vgprValuC+86:vgprValuC+86+1] // finalSum = sum*alpha + C*beta
_global_store_b64 v[82:83], v[86:87], off,  sc0 sc1 // store D
	;; [unrolled: 3-line block ×29, first 2 shown]
s_mov_b64 exec, -1                                 // full mask -> exec
s_nop 0                                            // 1 wait state required when next inst writes vgprs held by previous dwordx4 store inst
/* optSingleColVgpr=0 optSharedColVgpr=0 optSGPRUsage=None optSrdIncForRow=0 */
s_sleep 7 // optimization: sync and wait
s_barrier

/******************************************/
/* Global Write Alpha Beta Edge Batch #1 (d1,d0,vc1,vc0) = */
/*    (7,0,0,1:vw1); (7,1,0,0:vw1); (7,1,0,1:vw1) */
/******************************************/

/* calc coords, apply mask, and issue loads (if necessary) */

/* rC *= alpha batchElements=[(7, 0, 0, 1), (7, 1, 0, 0), (7, 1, 0, 1)] */
v_mul_f64 v[vgprValuC+80:vgprValuC+80+1], s[sgprAlpha:sgprAlpha+1], v[vgprValuC+46:vgprValuC+46+1] // Multiply MI out reg with alpha
v_mul_f64 v[vgprValuC+86:vgprValuC+86+1], s[sgprAlpha:sgprAlpha+1], v[vgprValuC+54:vgprValuC+54+1] // Multiply MI out reg with alpha
v_mul_f64 v[vgprValuC+92:vgprValuC+92+1], s[sgprAlpha:sgprAlpha+1], v[vgprValuC+62:vgprValuC+62+1] // Multiply MI out reg with alpha
/* (d1,vc1,d0,vc0)=(7,0,0,1) */
_v_add_co_u32 v70, vcc, v64, 1                     // coord0.1: coord0 += d0*sg0*VW + vc0
GLOBAL_OFFSET_C 76, 70, 65, sgprWorkGroup2, 72
v_mov_b32 v72, v76                                 // temp store offset 0
v_mov_b32 v73, v77                                 // temp store offset 1
v_cmp_lt_u32 s[38:39], v70, s[sgprSizesFree+0]     // coord0 < size0
v_cmp_lt_u32 s[40:41], v65, s[sgprSizesFree+1]     // coord1 < size1
s_and_b64 s[42:43], s[38:39], s[40:41]             // in0 && in1
s_mov_b64 exec, s[42:43]                           // sgprs -> exec
_v_add_co_u32 v76, vcc, v68, v72                   // addrVgpr = C + index*bytes (lo)
_v_addc_co_u32 v77, vcc, v69, v73, vcc             // addrVgpr = C + index*bytes (hi)
_global_load_b64 v[78:79], v[76:77], off, offset:0,  sc0 sc1 // load C for beta calc
GLOBAL_OFFSET_D 76, 70, 65, sgprWorkGroup2, 72
v_mov_b32 v72, v76                                 // temp store offset 0
v_mov_b32 v73, v77                                 // temp store offset 1
v_cmp_lt_u32 s[38:39], v70, s[sgprSizesFree+0]     // coord0 < size0
v_cmp_lt_u32 s[40:41], v65, s[sgprSizesFree+1]     // coord1 < size1
s_and_b64 s[42:43], s[38:39], s[40:41]             // in0 && in1
s_mov_b64 exec, s[42:43]                           // sgprs -> exec
_v_add_co_u32 v76, vcc, v66, v72                   // addrVgpr = D + index*bytes (lo)
_v_addc_co_u32 v77, vcc, v67, v73, vcc             // addrVgpr = D + index*bytes (hi)
s_mov_b64 exec, -1                                 // full mask -1 -> exec
/* (d1,vc1,d0,vc0)=(7,0,1,0) */
_v_add_co_u32 v70, vcc, v64, 32                    // coord0.1: coord0 += d0*sg0*VW + vc0
GLOBAL_OFFSET_C 82, 70, 65, sgprWorkGroup2, 72
v_mov_b32 v72, v82                                 // temp store offset 0
v_mov_b32 v73, v83                                 // temp store offset 1
v_cmp_lt_u32 s[38:39], v70, s[sgprSizesFree+0]     // coord0 < size0
v_cmp_lt_u32 s[40:41], v65, s[sgprSizesFree+1]     // coord1 < size1
s_and_b64 s[44:45], s[38:39], s[40:41]             // in0 && in1
s_mov_b64 exec, s[44:45]                           // sgprs -> exec
_v_add_co_u32 v82, vcc, v68, v72                   // addrVgpr = C + index*bytes (lo)
_v_addc_co_u32 v83, vcc, v69, v73, vcc             // addrVgpr = C + index*bytes (hi)
_global_load_b64 v[84:85], v[82:83], off, offset:0,  sc0 sc1 // load C for beta calc
GLOBAL_OFFSET_D 82, 70, 65, sgprWorkGroup2, 72
v_mov_b32 v72, v82                                 // temp store offset 0
v_mov_b32 v73, v83                                 // temp store offset 1
v_cmp_lt_u32 s[38:39], v70, s[sgprSizesFree+0]     // coord0 < size0
v_cmp_lt_u32 s[40:41], v65, s[sgprSizesFree+1]     // coord1 < size1
s_and_b64 s[44:45], s[38:39], s[40:41]             // in0 && in1
s_mov_b64 exec, s[44:45]                           // sgprs -> exec
_v_add_co_u32 v82, vcc, v66, v72                   // addrVgpr = D + index*bytes (lo)
_v_addc_co_u32 v83, vcc, v67, v73, vcc             // addrVgpr = D + index*bytes (hi)
s_mov_b64 exec, -1                                 // full mask -1 -> exec
/* (d1,vc1,d0,vc0)=(7,0,1,1) */
_v_add_co_u32 v70, vcc, v64, 33                    // coord0.1: coord0 += d0*sg0*VW + vc0
GLOBAL_OFFSET_C 88, 70, 65, sgprWorkGroup2, 72
v_mov_b32 v72, v88                                 // temp store offset 0
v_mov_b32 v73, v89                                 // temp store offset 1
v_cmp_lt_u32 s[38:39], v70, s[sgprSizesFree+0]     // coord0 < size0
v_cmp_lt_u32 s[40:41], v65, s[sgprSizesFree+1]     // coord1 < size1
s_and_b64 s[46:47], s[38:39], s[40:41]             // in0 && in1
s_mov_b64 exec, s[46:47]                           // sgprs -> exec
_v_add_co_u32 v88, vcc, v68, v72                   // addrVgpr = C + index*bytes (lo)
_v_addc_co_u32 v89, vcc, v69, v73, vcc             // addrVgpr = C + index*bytes (hi)
_global_load_b64 v[90:91], v[88:89], off, offset:0,  sc0 sc1 // load C for beta calc
GLOBAL_OFFSET_D 88, 70, 65, sgprWorkGroup2, 72
v_mov_b32 v72, v88                                 // temp store offset 0
v_mov_b32 v73, v89                                 // temp store offset 1
v_cmp_lt_u32 s[38:39], v70, s[sgprSizesFree+0]     // coord0 < size0
v_cmp_lt_u32 s[40:41], v65, s[sgprSizesFree+1]     // coord1 < size1
s_and_b64 s[46:47], s[38:39], s[40:41]             // in0 && in1
s_mov_b64 exec, s[46:47]                           // sgprs -> exec
_v_add_co_u32 v88, vcc, v66, v72                   // addrVgpr = D + index*bytes (lo)
_v_addc_co_u32 v89, vcc, v67, v73, vcc             // addrVgpr = D + index*bytes (hi)
s_mov_b64 exec, -1                                 // full mask -1 -> exec
s_sleep 7 // optimization: sync and wait
s_barrier
s_waitcnt vmcnt(0)                                 // wait C

/* apply mask, calc new C and issue writes */
s_mov_b64 exec, s[42:43]                           // sgprs -> exec
v_fma_f64 v[vgprValuC+80:vgprValuC+80+1], v[78:79], s[sgprBeta:sgprBeta+1], v[vgprValuC+80:vgprValuC+80+1] // finalSum = sum*alpha + C*beta
_global_store_b64 v[76:77], v[80:81], off,  sc0 sc1 // store D
s_mov_b64 exec, s[44:45]                           // sgprs -> exec
v_fma_f64 v[vgprValuC+86:vgprValuC+86+1], v[84:85], s[sgprBeta:sgprBeta+1], v[vgprValuC+86:vgprValuC+86+1] // finalSum = sum*alpha + C*beta
_global_store_b64 v[82:83], v[86:87], off,  sc0 sc1 // store D
	;; [unrolled: 3-line block ×3, first 2 shown]
s_mov_b64 exec, -1                                 // full mask -> exec
s_nop 0                                            // 1 wait state required when next inst writes vgprs held by previous dwordx4 store inst
s_branch label_GW_End_32                           // jump to end
label_GW_End_32:

label_0037:  /// KernelEnd
s_endpgm                                           // Kernel End

